;; amdgpu-corpus repo=ROCm/rocFFT kind=compiled arch=gfx906 opt=O3
	.text
	.amdgcn_target "amdgcn-amd-amdhsa--gfx906"
	.amdhsa_code_object_version 6
	.protected	bluestein_single_fwd_len924_dim1_dp_op_CI_CI ; -- Begin function bluestein_single_fwd_len924_dim1_dp_op_CI_CI
	.globl	bluestein_single_fwd_len924_dim1_dp_op_CI_CI
	.p2align	8
	.type	bluestein_single_fwd_len924_dim1_dp_op_CI_CI,@function
bluestein_single_fwd_len924_dim1_dp_op_CI_CI: ; @bluestein_single_fwd_len924_dim1_dp_op_CI_CI
; %bb.0:
	s_mov_b64 s[50:51], s[2:3]
	s_mov_b64 s[48:49], s[0:1]
	v_mul_u32_u24_e32 v1, 0x5d2, v0
	s_add_u32 s48, s48, s7
	v_add_u32_sdwa v3, s6, v1 dst_sel:DWORD dst_unused:UNUSED_PAD src0_sel:DWORD src1_sel:WORD_1
	s_addc_u32 s49, s49, 0
	v_mov_b32_e32 v2, v3
	buffer_store_dword v2, off, s[48:51], 0 offset:4 ; 4-byte Folded Spill
	s_nop 0
	buffer_store_dword v3, off, s[48:51], 0 offset:8 ; 4-byte Folded Spill
	s_load_dwordx4 s[12:15], s[4:5], 0x28
	v_mov_b32_e32 v4, 0
	s_waitcnt lgkmcnt(0)
	v_cmp_gt_u64_e32 vcc, s[12:13], v[3:4]
	s_and_saveexec_b64 s[0:1], vcc
	s_cbranch_execz .LBB0_31
; %bb.1:
	s_load_dwordx4 s[0:3], s[4:5], 0x18
	s_load_dwordx2 s[16:17], s[4:5], 0x0
	v_mov_b32_e32 v2, 44
	v_mul_lo_u16_sdwa v1, v1, v2 dst_sel:DWORD dst_unused:UNUSED_PAD src0_sel:WORD_1 src1_sel:DWORD
	v_sub_u16_e32 v165, v0, v1
	s_waitcnt lgkmcnt(0)
	s_load_dwordx4 s[8:11], s[0:1], 0x0
	buffer_load_dword v0, off, s[48:51], 0 offset:4 ; 4-byte Folded Reload
	buffer_load_dword v1, off, s[48:51], 0 offset:8 ; 4-byte Folded Reload
	v_lshlrev_b32_e32 v168, 4, v165
	v_add_co_u32_e64 v71, s[6:7], s16, v168
	s_waitcnt lgkmcnt(0)
	v_mad_u64_u32 v[2:3], s[0:1], s8, v165, 0
	s_waitcnt vmcnt(1)
	v_mov_b32_e32 v4, v0
	s_waitcnt vmcnt(0)
	v_mad_u64_u32 v[0:1], s[0:1], s10, v4, 0
	v_mad_u64_u32 v[4:5], s[0:1], s11, v4, v[1:2]
	;; [unrolled: 1-line block ×3, first 2 shown]
	v_mov_b32_e32 v1, v4
	v_lshlrev_b64 v[0:1], 4, v[0:1]
	v_mov_b32_e32 v6, s15
	v_mov_b32_e32 v3, v5
	v_add_co_u32_e32 v4, vcc, s14, v0
	v_addc_co_u32_e32 v5, vcc, v6, v1, vcc
	v_lshlrev_b64 v[0:1], 4, v[2:3]
	s_mul_i32 s0, s9, 0x1ce
	s_mul_hi_u32 s1, s8, 0x1ce
	v_add_co_u32_e32 v8, vcc, v4, v0
	v_mov_b32_e32 v0, s17
	s_add_i32 s1, s1, s0
	s_mul_i32 s0, s8, 0x1ce
	v_addc_co_u32_e32 v9, vcc, v5, v1, vcc
	v_addc_co_u32_e64 v72, vcc, 0, v0, s[6:7]
	s_lshl_b64 s[14:15], s[0:1], 4
	v_mov_b32_e32 v16, s15
	v_add_co_u32_e32 v10, vcc, s14, v8
	v_addc_co_u32_e32 v11, vcc, v9, v16, vcc
	s_movk_i32 s0, 0x1000
	s_mul_hi_u32 s1, s8, 0xfffffe5e
	v_add_co_u32_e32 v12, vcc, s0, v71
	s_mul_i32 s0, s9, 0xfffffe5e
	s_sub_i32 s1, s1, s8
	s_add_i32 s1, s1, s0
	s_mul_i32 s0, s8, 0xfffffe5e
	v_addc_co_u32_e32 v13, vcc, 0, v72, vcc
	s_lshl_b64 s[18:19], s[0:1], 4
	v_mov_b32_e32 v79, s19
	v_add_co_u32_e32 v14, vcc, s18, v10
	v_addc_co_u32_e32 v15, vcc, v11, v79, vcc
	global_load_dwordx4 v[0:3], v[8:9], off
	global_load_dwordx4 v[4:7], v[10:11], off
	global_load_dwordx4 v[183:186], v[12:13], off offset:3296
	s_nop 0
	global_load_dwordx4 v[8:11], v[14:15], off
	global_load_dwordx4 v[157:160], v168, s[16:17]
	global_load_dwordx4 v[113:116], v168, s[16:17] offset:704
	v_add_co_u32_e32 v14, vcc, s14, v14
	v_addc_co_u32_e32 v15, vcc, v15, v16, vcc
	global_load_dwordx4 v[101:104], v[12:13], off offset:4000
	global_load_dwordx4 v[17:20], v[14:15], off
	s_movk_i32 s0, 0x2000
	v_add_co_u32_e32 v61, vcc, s0, v71
	v_addc_co_u32_e32 v62, vcc, 0, v72, vcc
	v_add_co_u32_e32 v14, vcc, s18, v14
	v_addc_co_u32_e32 v15, vcc, v15, v79, vcc
	;; [unrolled: 2-line block ×3, first 2 shown]
	global_load_dwordx4 v[105:108], v168, s[16:17] offset:1408
	global_load_dwordx4 v[161:164], v168, s[16:17] offset:2112
	global_load_dwordx4 v[145:148], v[61:62], off offset:608
	global_load_dwordx4 v[125:128], v[61:62], off offset:1312
	global_load_dwordx4 v[21:24], v[14:15], off
	v_add_co_u32_e32 v14, vcc, s18, v28
	v_addc_co_u32_e32 v15, vcc, v29, v79, vcc
	v_add_co_u32_e32 v37, vcc, s14, v14
	v_addc_co_u32_e32 v38, vcc, v15, v16, vcc
	global_load_dwordx4 v[25:28], v[28:29], off
	s_movk_i32 s0, 0x3000
	global_load_dwordx4 v[29:32], v[14:15], off
	v_add_co_u32_e32 v14, vcc, s18, v37
	v_addc_co_u32_e32 v15, vcc, v38, v79, vcc
	global_load_dwordx4 v[33:36], v[37:38], off
	s_waitcnt vmcnt(13)
	v_mul_f64 v[89:90], v[6:7], v[185:186]
	global_load_dwordx4 v[37:40], v[14:15], off
	v_add_co_u32_e32 v14, vcc, s14, v14
	v_addc_co_u32_e32 v15, vcc, v15, v16, vcc
	global_load_dwordx4 v[41:44], v[14:15], off
	v_add_co_u32_e32 v14, vcc, s18, v14
	v_addc_co_u32_e32 v15, vcc, v15, v79, vcc
	global_load_dwordx4 v[45:48], v[14:15], off
	global_load_dwordx4 v[153:156], v168, s[16:17] offset:2816
	global_load_dwordx4 v[129:132], v168, s[16:17] offset:3520
	v_add_co_u32_e32 v14, vcc, s14, v14
	v_addc_co_u32_e32 v15, vcc, v15, v16, vcc
	global_load_dwordx4 v[49:52], v[14:15], off
	global_load_dwordx4 v[149:152], v[61:62], off offset:2016
	global_load_dwordx4 v[133:136], v[61:62], off offset:2720
	v_add_co_u32_e32 v14, vcc, s18, v14
	v_addc_co_u32_e32 v15, vcc, v15, v79, vcc
	global_load_dwordx4 v[53:56], v[14:15], off
	v_add_co_u32_e32 v14, vcc, s14, v14
	v_addc_co_u32_e32 v15, vcc, v15, v16, vcc
	global_load_dwordx4 v[57:60], v[14:15], off
	global_load_dwordx4 v[173:176], v[61:62], off offset:3424
	v_add_co_u32_e32 v14, vcc, s18, v14
	v_addc_co_u32_e32 v15, vcc, v15, v79, vcc
	v_add_co_u32_e32 v69, vcc, s14, v14
	v_addc_co_u32_e32 v70, vcc, v15, v16, vcc
	global_load_dwordx4 v[61:64], v[14:15], off
	global_load_dwordx4 v[141:144], v[12:13], off offset:128
	global_load_dwordx4 v[109:112], v[12:13], off offset:832
	v_add_co_u32_e32 v14, vcc, s0, v71
	v_addc_co_u32_e32 v15, vcc, 0, v72, vcc
	s_waitcnt vmcnt(25)
	v_mul_f64 v[85:86], v[2:3], v[159:160]
	v_add_co_u32_e32 v73, vcc, s18, v69
	v_addc_co_u32_e32 v74, vcc, v70, v79, vcc
	s_waitcnt vmcnt(24)
	v_mul_f64 v[93:94], v[10:11], v[115:116]
	v_add_co_u32_e32 v77, vcc, s14, v73
	s_waitcnt vmcnt(22)
	v_mul_f64 v[97:98], v[19:20], v[103:104]
	v_addc_co_u32_e32 v78, vcc, v74, v16, vcc
	v_add_co_u32_e32 v81, vcc, s18, v77
	buffer_store_dword v71, off, s[48:51], 0 offset:12 ; 4-byte Folded Spill
	buffer_store_dword v72, off, s[48:51], 0 offset:812 ; 4-byte Folded Spill
	v_addc_co_u32_e32 v82, vcc, v78, v79, vcc
	global_load_dwordx4 v[65:68], v[69:70], off
	global_load_dwordx4 v[117:120], v[14:15], off offset:32
	v_mul_f64 v[87:88], v[0:1], v[159:160]
	global_load_dwordx4 v[69:72], v[73:74], off
	s_nop 0
	global_load_dwordx4 v[73:76], v[77:78], off
	global_load_dwordx4 v[169:172], v[14:15], off offset:736
	s_nop 0
	global_load_dwordx4 v[77:80], v[81:82], off
	global_load_dwordx4 v[137:140], v[12:13], off offset:1536
	global_load_dwordx4 v[187:190], v[12:13], off offset:2240
	v_add_co_u32_e32 v12, vcc, s14, v81
	v_addc_co_u32_e32 v13, vcc, v82, v16, vcc
	global_load_dwordx4 v[81:84], v[12:13], off
	global_load_dwordx4 v[121:124], v[14:15], off offset:1440
	v_fma_f64 v[0:1], v[0:1], v[157:158], v[85:86]
	buffer_store_dword v157, off, s[48:51], 0 offset:240 ; 4-byte Folded Spill
	s_nop 0
	buffer_store_dword v158, off, s[48:51], 0 offset:244 ; 4-byte Folded Spill
	buffer_store_dword v159, off, s[48:51], 0 offset:248 ; 4-byte Folded Spill
	buffer_store_dword v160, off, s[48:51], 0 offset:252 ; 4-byte Folded Spill
	v_mul_f64 v[91:92], v[4:5], v[185:186]
	v_fma_f64 v[4:5], v[4:5], v[183:184], v[89:90]
	buffer_store_dword v183, off, s[48:51], 0 offset:320 ; 4-byte Folded Spill
	s_nop 0
	buffer_store_dword v184, off, s[48:51], 0 offset:324 ; 4-byte Folded Spill
	buffer_store_dword v185, off, s[48:51], 0 offset:328 ; 4-byte Folded Spill
	buffer_store_dword v186, off, s[48:51], 0 offset:332 ; 4-byte Folded Spill
	v_mul_f64 v[95:96], v[8:9], v[115:116]
	;; [unrolled: 7-line block ×3, first 2 shown]
	v_fma_f64 v[16:17], v[17:18], v[101:102], v[97:98]
	buffer_store_dword v101, off, s[48:51], 0 offset:16 ; 4-byte Folded Spill
	s_nop 0
	buffer_store_dword v102, off, s[48:51], 0 offset:20 ; 4-byte Folded Spill
	buffer_store_dword v103, off, s[48:51], 0 offset:24 ; 4-byte Folded Spill
	;; [unrolled: 1-line block ×3, first 2 shown]
	s_load_dwordx2 s[12:13], s[4:5], 0x38
	s_load_dwordx4 s[8:11], s[2:3], 0x0
	v_cmp_gt_u16_e64 s[0:1], 22, v165
	v_fma_f64 v[2:3], v[2:3], v[157:158], -v[87:88]
	v_fma_f64 v[6:7], v[6:7], v[183:184], -v[91:92]
	;; [unrolled: 1-line block ×4, first 2 shown]
	ds_write_b128 v168, v[0:3]
	ds_write_b128 v168, v[4:7] offset:7392
	ds_write_b128 v168, v[8:11] offset:704
	ds_write_b128 v168, v[16:19] offset:8096
	s_waitcnt vmcnt(45)
	v_mul_f64 v[0:1], v[23:24], v[107:108]
	s_waitcnt vmcnt(44)
	v_mul_f64 v[4:5], v[27:28], v[147:148]
	;; [unrolled: 2-line block ×3, first 2 shown]
	v_mul_f64 v[2:3], v[21:22], v[107:108]
	v_mul_f64 v[6:7], v[25:26], v[147:148]
	;; [unrolled: 1-line block ×3, first 2 shown]
	s_waitcnt vmcnt(42)
	v_mul_f64 v[16:17], v[35:36], v[127:128]
	v_mul_f64 v[18:19], v[33:34], v[127:128]
	v_fma_f64 v[0:1], v[21:22], v[105:106], v[0:1]
	buffer_store_dword v105, off, s[48:51], 0 offset:32 ; 4-byte Folded Spill
	s_nop 0
	buffer_store_dword v106, off, s[48:51], 0 offset:36 ; 4-byte Folded Spill
	buffer_store_dword v107, off, s[48:51], 0 offset:40 ; 4-byte Folded Spill
	buffer_store_dword v108, off, s[48:51], 0 offset:44 ; 4-byte Folded Spill
	v_fma_f64 v[4:5], v[25:26], v[145:146], v[4:5]
	buffer_store_dword v145, off, s[48:51], 0 offset:192 ; 4-byte Folded Spill
	s_nop 0
	buffer_store_dword v146, off, s[48:51], 0 offset:196 ; 4-byte Folded Spill
	buffer_store_dword v147, off, s[48:51], 0 offset:200 ; 4-byte Folded Spill
	buffer_store_dword v148, off, s[48:51], 0 offset:204 ; 4-byte Folded Spill
	;; [unrolled: 6-line block ×4, first 2 shown]
	s_waitcnt vmcnt(54)
	v_mul_f64 v[20:21], v[39:40], v[155:156]
	v_fma_f64 v[20:21], v[37:38], v[153:154], v[20:21]
	v_fma_f64 v[2:3], v[23:24], v[105:106], -v[2:3]
	s_waitcnt vmcnt(51)
	v_mul_f64 v[24:25], v[43:44], v[151:152]
	v_fma_f64 v[6:7], v[27:28], v[145:146], -v[6:7]
	v_mul_f64 v[28:29], v[47:48], v[131:132]
	v_fma_f64 v[10:11], v[31:32], v[161:162], -v[10:11]
	s_waitcnt vmcnt(50)
	v_mul_f64 v[32:33], v[51:52], v[135:136]
	v_mul_f64 v[22:23], v[37:38], v[155:156]
	buffer_store_dword v153, off, s[48:51], 0 offset:224 ; 4-byte Folded Spill
	s_nop 0
	buffer_store_dword v154, off, s[48:51], 0 offset:228 ; 4-byte Folded Spill
	buffer_store_dword v155, off, s[48:51], 0 offset:232 ; 4-byte Folded Spill
	buffer_store_dword v156, off, s[48:51], 0 offset:236 ; 4-byte Folded Spill
	v_mul_f64 v[26:27], v[41:42], v[151:152]
	v_fma_f64 v[24:25], v[41:42], v[149:150], v[24:25]
	buffer_store_dword v149, off, s[48:51], 0 offset:208 ; 4-byte Folded Spill
	s_nop 0
	buffer_store_dword v150, off, s[48:51], 0 offset:212 ; 4-byte Folded Spill
	buffer_store_dword v151, off, s[48:51], 0 offset:216 ; 4-byte Folded Spill
	;; [unrolled: 1-line block ×3, first 2 shown]
	v_mul_f64 v[30:31], v[45:46], v[131:132]
	v_fma_f64 v[28:29], v[45:46], v[129:130], v[28:29]
	buffer_store_dword v129, off, s[48:51], 0 offset:128 ; 4-byte Folded Spill
	s_nop 0
	buffer_store_dword v130, off, s[48:51], 0 offset:132 ; 4-byte Folded Spill
	buffer_store_dword v131, off, s[48:51], 0 offset:136 ; 4-byte Folded Spill
	buffer_store_dword v132, off, s[48:51], 0 offset:140 ; 4-byte Folded Spill
	v_fma_f64 v[18:19], v[35:36], v[125:126], -v[18:19]
	v_mul_f64 v[34:35], v[49:50], v[135:136]
	v_fma_f64 v[32:33], v[49:50], v[133:134], v[32:33]
	buffer_store_dword v133, off, s[48:51], 0 offset:144 ; 4-byte Folded Spill
	s_nop 0
	buffer_store_dword v134, off, s[48:51], 0 offset:148 ; 4-byte Folded Spill
	buffer_store_dword v135, off, s[48:51], 0 offset:152 ; 4-byte Folded Spill
	;; [unrolled: 1-line block ×3, first 2 shown]
	v_fma_f64 v[22:23], v[39:40], v[153:154], -v[22:23]
	v_fma_f64 v[26:27], v[43:44], v[149:150], -v[26:27]
	;; [unrolled: 1-line block ×4, first 2 shown]
	ds_write_b128 v168, v[0:3] offset:1408
	ds_write_b128 v168, v[4:7] offset:8800
	;; [unrolled: 1-line block ×8, first 2 shown]
	s_waitcnt vmcnt(61)
	v_mul_f64 v[0:1], v[55:56], v[143:144]
	v_mul_f64 v[4:5], v[59:60], v[175:176]
	s_waitcnt vmcnt(60)
	v_mul_f64 v[8:9], v[63:64], v[111:112]
	s_waitcnt vmcnt(56)
	;; [unrolled: 2-line block ×3, first 2 shown]
	v_mul_f64 v[20:21], v[71:72], v[139:140]
	v_mul_f64 v[24:25], v[75:76], v[171:172]
	s_waitcnt vmcnt(50)
	v_mul_f64 v[28:29], v[79:80], v[189:190]
	s_waitcnt vmcnt(48)
	v_mul_f64 v[32:33], v[83:84], v[123:124]
	v_mul_f64 v[2:3], v[53:54], v[143:144]
	v_fma_f64 v[0:1], v[53:54], v[141:142], v[0:1]
	buffer_store_dword v141, off, s[48:51], 0 offset:176 ; 4-byte Folded Spill
	s_nop 0
	buffer_store_dword v142, off, s[48:51], 0 offset:180 ; 4-byte Folded Spill
	buffer_store_dword v143, off, s[48:51], 0 offset:184 ; 4-byte Folded Spill
	buffer_store_dword v144, off, s[48:51], 0 offset:188 ; 4-byte Folded Spill
	v_mul_f64 v[6:7], v[57:58], v[175:176]
	v_fma_f64 v[4:5], v[57:58], v[173:174], v[4:5]
	buffer_store_dword v173, off, s[48:51], 0 offset:288 ; 4-byte Folded Spill
	s_nop 0
	buffer_store_dword v174, off, s[48:51], 0 offset:292 ; 4-byte Folded Spill
	buffer_store_dword v175, off, s[48:51], 0 offset:296 ; 4-byte Folded Spill
	buffer_store_dword v176, off, s[48:51], 0 offset:300 ; 4-byte Folded Spill
	;; [unrolled: 7-line block ×8, first 2 shown]
	v_fma_f64 v[2:3], v[55:56], v[141:142], -v[2:3]
	v_fma_f64 v[6:7], v[59:60], v[173:174], -v[6:7]
	;; [unrolled: 1-line block ×8, first 2 shown]
	ds_write_b128 v168, v[0:3] offset:4224
	ds_write_b128 v168, v[4:7] offset:11616
	;; [unrolled: 1-line block ×8, first 2 shown]
	buffer_store_dword v165, off, s[48:51], 0 ; 4-byte Folded Spill
	s_and_saveexec_b64 s[2:3], s[0:1]
	s_cbranch_execz .LBB0_3
; %bb.2:
	buffer_load_dword v4, off, s[48:51], 0 offset:12 ; 4-byte Folded Reload
	buffer_load_dword v5, off, s[48:51], 0 offset:812 ; 4-byte Folded Reload
	v_mov_b32_e32 v0, s19
	v_add_co_u32_e32 v8, vcc, s18, v12
	v_addc_co_u32_e32 v9, vcc, v13, v0, vcc
	global_load_dwordx4 v[0:3], v[8:9], off
	v_mov_b32_e32 v10, s15
	s_waitcnt vmcnt(2)
	v_add_co_u32_e32 v4, vcc, 0x1000, v4
	s_waitcnt vmcnt(1)
	v_addc_co_u32_e32 v5, vcc, 0, v5, vcc
	global_load_dwordx4 v[4:7], v[4:5], off offset:2944
	v_add_co_u32_e32 v12, vcc, s14, v8
	v_addc_co_u32_e32 v13, vcc, v9, v10, vcc
	global_load_dwordx4 v[8:11], v[14:15], off offset:2144
	global_load_dwordx4 v[16:19], v[12:13], off
	s_waitcnt vmcnt(2)
	v_mul_f64 v[12:13], v[2:3], v[6:7]
	v_mul_f64 v[6:7], v[0:1], v[6:7]
	s_waitcnt vmcnt(0)
	v_mul_f64 v[14:15], v[18:19], v[10:11]
	v_mul_f64 v[10:11], v[16:17], v[10:11]
	v_fma_f64 v[0:1], v[0:1], v[4:5], v[12:13]
	v_fma_f64 v[2:3], v[2:3], v[4:5], -v[6:7]
	v_fma_f64 v[4:5], v[16:17], v[8:9], v[14:15]
	v_fma_f64 v[6:7], v[18:19], v[8:9], -v[10:11]
	ds_write_b128 v168, v[0:3] offset:7040
	ds_write_b128 v168, v[4:7] offset:14432
.LBB0_3:
	s_or_b64 exec, exec, s[2:3]
	s_waitcnt lgkmcnt(0)
	; wave barrier
	s_waitcnt lgkmcnt(0)
	ds_read_b128 v[68:71], v168
	ds_read_b128 v[72:75], v168 offset:704
	ds_read_b128 v[88:91], v168 offset:7392
	;; [unrolled: 1-line block ×19, first 2 shown]
                                        ; implicit-def: $vgpr16_vgpr17
                                        ; implicit-def: $vgpr20_vgpr21
	s_and_saveexec_b64 s[2:3], s[0:1]
	s_cbranch_execz .LBB0_5
; %bb.4:
	ds_read_b128 v[16:19], v168 offset:7040
	ds_read_b128 v[20:23], v168 offset:14432
.LBB0_5:
	s_or_b64 exec, exec, s[2:3]
	buffer_load_dword v96, off, s[48:51], 0 ; 4-byte Folded Reload
	s_waitcnt lgkmcnt(14)
	v_add_f64 v[88:89], v[68:69], -v[88:89]
	v_add_f64 v[90:91], v[70:71], -v[90:91]
	;; [unrolled: 1-line block ×4, first 2 shown]
	s_waitcnt lgkmcnt(13)
	v_add_f64 v[80:81], v[64:65], -v[80:81]
	v_add_f64 v[82:83], v[66:67], -v[82:83]
	s_waitcnt lgkmcnt(12)
	v_add_f64 v[60:61], v[36:37], -v[60:61]
	v_add_f64 v[62:63], v[38:39], -v[62:63]
	s_waitcnt lgkmcnt(9)
	v_add_f64 v[56:57], v[40:41], -v[56:57]
	v_add_f64 v[58:59], v[42:43], -v[58:59]
	s_waitcnt lgkmcnt(8)
	v_add_f64 v[52:53], v[44:45], -v[52:53]
	v_add_f64 v[54:55], v[46:47], -v[54:55]
	s_waitcnt lgkmcnt(5)
	v_add_f64 v[48:49], v[32:33], -v[48:49]
	v_add_f64 v[50:51], v[34:35], -v[50:51]
	s_waitcnt lgkmcnt(4)
	v_add_f64 v[28:29], v[0:1], -v[28:29]
	s_waitcnt lgkmcnt(1)
	v_add_f64 v[24:25], v[8:9], -v[24:25]
	v_add_f64 v[26:27], v[10:11], -v[26:27]
	s_waitcnt lgkmcnt(0)
	v_add_f64 v[105:106], v[12:13], -v[4:5]
	v_add_f64 v[4:5], v[16:17], -v[20:21]
	v_fma_f64 v[68:69], v[68:69], 2.0, -v[88:89]
	v_fma_f64 v[70:71], v[70:71], 2.0, -v[90:91]
	v_add_f64 v[30:31], v[2:3], -v[30:31]
	v_fma_f64 v[72:73], v[72:73], 2.0, -v[84:85]
	v_fma_f64 v[74:75], v[74:75], 2.0, -v[86:87]
	v_add_f64 v[107:108], v[14:15], -v[6:7]
	v_add_f64 v[6:7], v[18:19], -v[22:23]
	v_fma_f64 v[64:65], v[64:65], 2.0, -v[80:81]
	v_fma_f64 v[66:67], v[66:67], 2.0, -v[82:83]
	;; [unrolled: 1-line block ×10, first 2 shown]
	s_movk_i32 s2, 0x58
	v_fma_f64 v[20:21], v[0:1], 2.0, -v[28:29]
	v_fma_f64 v[8:9], v[8:9], 2.0, -v[24:25]
	v_fma_f64 v[10:11], v[10:11], 2.0, -v[26:27]
	v_fma_f64 v[0:1], v[16:17], 2.0, -v[4:5]
	v_fma_f64 v[22:23], v[2:3], 2.0, -v[30:31]
	s_waitcnt lgkmcnt(0)
	; wave barrier
	s_waitcnt vmcnt(63) expcnt(7) lgkmcnt(15)
	v_fma_f64 v[12:13], v[12:13], 2.0, -v[105:106]
	v_fma_f64 v[14:15], v[14:15], 2.0, -v[107:108]
	;; [unrolled: 1-line block ×3, first 2 shown]
	s_load_dwordx2 s[4:5], s[4:5], 0x8
	s_waitcnt vmcnt(0)
	v_add_co_u32_e32 v76, vcc, 44, v96
	v_lshlrev_b32_e32 v16, 5, v96
	v_add_co_u32_e32 v77, vcc, s2, v96
	s_movk_i32 s2, 0x84
	ds_write_b128 v16, v[68:71]
	buffer_store_dword v16, off, s[48:51], 0 offset:356 ; 4-byte Folded Spill
	ds_write_b128 v16, v[88:91] offset:16
	v_lshlrev_b32_e32 v16, 5, v76
	v_add_co_u32_e32 v93, vcc, s2, v96
	s_movk_i32 s2, 0xb0
	ds_write_b128 v16, v[72:75]
	buffer_store_dword v16, off, s[48:51], 0 offset:360 ; 4-byte Folded Spill
	ds_write_b128 v16, v[84:87] offset:16
	v_lshlrev_b32_e32 v16, 5, v77
	v_add_co_u32_e32 v92, vcc, s2, v96
	s_movk_i32 s2, 0xdc
	ds_write_b128 v16, v[64:67]
	buffer_store_dword v16, off, s[48:51], 0 offset:364 ; 4-byte Folded Spill
	ds_write_b128 v16, v[80:83] offset:16
	v_lshlrev_b32_e32 v16, 5, v93
	v_add_co_u32_e32 v79, vcc, s2, v96
	s_movk_i32 s2, 0x108
	ds_write_b128 v16, v[36:39]
	buffer_store_dword v16, off, s[48:51], 0 offset:368 ; 4-byte Folded Spill
	ds_write_b128 v16, v[60:63] offset:16
	v_lshlrev_b32_e32 v16, 5, v92
	v_add_co_u32_e32 v78, vcc, s2, v96
	v_lshlrev_b32_e32 v95, 1, v96
	ds_write_b128 v16, v[40:43]
	buffer_store_dword v16, off, s[48:51], 0 offset:372 ; 4-byte Folded Spill
	ds_write_b128 v16, v[56:59] offset:16
	v_lshlrev_b32_e32 v16, 5, v79
	ds_write_b128 v16, v[44:47]
	buffer_store_dword v16, off, s[48:51], 0 offset:376 ; 4-byte Folded Spill
	ds_write_b128 v16, v[52:55] offset:16
	v_lshlrev_b32_e32 v16, 5, v78
	v_add_u32_e32 v97, 0x268, v95
	s_movk_i32 s2, 0x1b8
	ds_write_b128 v16, v[32:35]
	buffer_store_dword v16, off, s[48:51], 0 offset:380 ; 4-byte Folded Spill
	ds_write_b128 v16, v[48:51] offset:16
	v_lshlrev_b32_e32 v17, 4, v97
	v_lshlrev_b32_e32 v16, 4, v95
	v_add_u32_e32 v99, 0x2c0, v95
	v_add_u32_e32 v100, 0x318, v95
	v_add_co_u32_e32 v94, vcc, s2, v96
	buffer_store_dword v17, off, s[48:51], 0 offset:384 ; 4-byte Folded Spill
	ds_write_b128 v17, v[28:31] offset:16
	v_lshlrev_b32_e32 v17, 4, v99
	ds_write_b128 v16, v[8:11] offset:11264
	v_lshlrev_b32_e32 v8, 4, v100
	v_lshlrev_b32_e32 v101, 1, v76
	;; [unrolled: 1-line block ×7, first 2 shown]
	ds_write_b128 v16, v[20:23] offset:9856
	ds_write_b128 v17, v[24:27] offset:16
	buffer_store_dword v8, off, s[48:51], 0 offset:392 ; 4-byte Folded Spill
	ds_write_b128 v8, v[105:108] offset:16
	v_lshlrev_b32_e32 v8, 5, v94
	buffer_store_dword v17, off, s[48:51], 0 offset:388 ; 4-byte Folded Spill
	ds_write_b128 v16, v[12:15] offset:12672
	buffer_store_dword v8, off, s[48:51], 0 offset:1012 ; 4-byte Folded Spill
	s_and_saveexec_b64 s[2:3], s[0:1]
	s_cbranch_execz .LBB0_7
; %bb.6:
	v_lshlrev_b32_e32 v8, 5, v94
	ds_write_b128 v8, v[0:3]
	ds_write_b128 v8, v[4:7] offset:16
.LBB0_7:
	s_or_b64 exec, exec, s[2:3]
	s_waitcnt lgkmcnt(0)
	; wave barrier
	s_waitcnt lgkmcnt(0)
	ds_read_b128 v[8:11], v168
	ds_read_b128 v[12:15], v168 offset:704
	ds_read_b128 v[52:55], v168 offset:7392
	;; [unrolled: 1-line block ×19, first 2 shown]
	s_and_saveexec_b64 s[2:3], s[0:1]
	s_cbranch_execz .LBB0_9
; %bb.8:
	ds_read_b128 v[0:3], v168 offset:7040
	ds_read_b128 v[4:7], v168 offset:14432
.LBB0_9:
	s_or_b64 exec, exec, s[2:3]
	buffer_load_dword v105, off, s[48:51], 0 ; 4-byte Folded Reload
	s_movk_i32 s2, 0x7c
	s_movk_i32 s3, 0xfc
	;; [unrolled: 1-line block ×4, first 2 shown]
	s_waitcnt vmcnt(0)
	v_and_b32_e32 v123, 1, v105
	v_lshlrev_b32_e32 v105, 4, v123
	global_load_dwordx4 v[124:127], v105, s[4:5]
	v_and_or_b32 v95, v95, s2, v123
	v_and_or_b32 v101, v101, s3, v123
	;; [unrolled: 1-line block ×5, first 2 shown]
	v_lshlrev_b32_e32 v153, 4, v95
	v_lshlrev_b32_e32 v152, 4, v101
	;; [unrolled: 1-line block ×5, first 2 shown]
	s_waitcnt lgkmcnt(0)
	; wave barrier
	s_waitcnt lgkmcnt(0)
	s_movk_i32 s2, 0x2fc
	buffer_store_dword v153, off, s[48:51], 0 offset:352 ; 4-byte Folded Spill
	s_waitcnt vmcnt(1)
	v_mul_f64 v[101:102], v[54:55], v[126:127]
	v_mul_f64 v[103:104], v[52:53], v[126:127]
	;; [unrolled: 1-line block ×22, first 2 shown]
	v_fma_f64 v[52:53], v[52:53], v[124:125], -v[101:102]
	v_fma_f64 v[54:55], v[54:55], v[124:125], v[103:104]
	v_fma_f64 v[64:65], v[64:65], v[124:125], -v[121:122]
	v_fma_f64 v[66:67], v[66:67], v[124:125], v[128:129]
	;; [unrolled: 2-line block ×11, first 2 shown]
	v_add_f64 v[4:5], v[8:9], -v[52:53]
	v_add_f64 v[6:7], v[10:11], -v[54:55]
	;; [unrolled: 1-line block ×20, first 2 shown]
	v_fma_f64 v[8:9], v[8:9], 2.0, -v[4:5]
	v_fma_f64 v[10:11], v[10:11], 2.0, -v[6:7]
	;; [unrolled: 1-line block ×18, first 2 shown]
	ds_write_b128 v153, v[4:7] offset:32
	v_and_or_b32 v4, v98, s14, v123
	v_lshlrev_b32_e32 v4, 4, v4
	v_fma_f64 v[44:45], v[44:45], 2.0, -v[84:85]
	v_fma_f64 v[46:47], v[46:47], 2.0, -v[86:87]
	ds_write_b128 v153, v[8:11]
	ds_write_b128 v152, v[12:15]
	buffer_store_dword v152, off, s[48:51], 0 offset:348 ; 4-byte Folded Spill
	ds_write_b128 v152, v[48:51] offset:32
	ds_write_b128 v151, v[16:19]
	buffer_store_dword v151, off, s[48:51], 0 offset:344 ; 4-byte Folded Spill
	ds_write_b128 v151, v[52:55] offset:32
	ds_write_b128 v150, v[20:23]
	buffer_store_dword v150, off, s[48:51], 0 offset:340 ; 4-byte Folded Spill
	ds_write_b128 v150, v[56:59] offset:32
	ds_write_b128 v95, v[24:27]
	ds_write_b128 v95, v[60:63] offset:32
	ds_write_b128 v4, v[28:31]
	buffer_store_dword v4, off, s[48:51], 0 offset:396 ; 4-byte Folded Spill
	ds_write_b128 v4, v[64:67] offset:32
	v_and_or_b32 v4, v96, s2, v123
	v_add_f64 v[134:135], v[0:1], -v[101:102]
	v_add_f64 v[136:137], v[2:3], -v[103:104]
	v_lshlrev_b32_e32 v4, 4, v4
	ds_write_b128 v4, v[32:35]
	buffer_store_dword v4, off, s[48:51], 0 offset:404 ; 4-byte Folded Spill
	ds_write_b128 v4, v[68:71] offset:32
	v_and_or_b32 v4, v97, s2, v123
	v_lshlrev_b32_e32 v4, 4, v4
	ds_write_b128 v4, v[36:39]
	buffer_store_dword v4, off, s[48:51], 0 offset:408 ; 4-byte Folded Spill
	ds_write_b128 v4, v[72:75] offset:32
	v_and_or_b32 v4, v99, s14, v123
	;; [unrolled: 5-line block ×3, first 2 shown]
	v_lshlrev_b32_e32 v4, 4, v4
	ds_write_b128 v4, v[44:47]
	buffer_store_dword v4, off, s[48:51], 0 offset:416 ; 4-byte Folded Spill
	ds_write_b128 v4, v[84:87] offset:32
	v_lshlrev_b32_e32 v4, 1, v94
	buffer_store_dword v95, off, s[48:51], 0 offset:336 ; 4-byte Folded Spill
	buffer_store_dword v123, off, s[48:51], 0 offset:1008 ; 4-byte Folded Spill
	;; [unrolled: 1-line block ×3, first 2 shown]
	s_and_saveexec_b64 s[2:3], s[0:1]
	s_cbranch_execz .LBB0_11
; %bb.10:
	buffer_load_dword v4, off, s[48:51], 0  ; 4-byte Folded Reload
	buffer_load_dword v5, off, s[48:51], 0 offset:400 ; 4-byte Folded Reload
	v_fma_f64 v[2:3], v[2:3], 2.0, -v[136:137]
	v_fma_f64 v[0:1], v[0:1], 2.0, -v[134:135]
	s_waitcnt vmcnt(1)
	v_and_b32_e32 v4, 1, v4
	s_waitcnt vmcnt(0)
	v_and_or_b32 v4, v5, s14, v4
	v_lshlrev_b32_e32 v4, 4, v4
	ds_write_b128 v4, v[0:3]
	ds_write_b128 v4, v[134:137] offset:32
.LBB0_11:
	s_or_b64 exec, exec, s[2:3]
	s_waitcnt lgkmcnt(0)
	; wave barrier
	s_waitcnt lgkmcnt(0)
	ds_read_b128 v[24:27], v168
	ds_read_b128 v[12:15], v168 offset:4928
	ds_read_b128 v[28:31], v168 offset:9856
	;; [unrolled: 1-line block ×20, first 2 shown]
	buffer_load_dword v138, off, s[48:51], 0 ; 4-byte Folded Reload
	s_mov_b32 s2, 0xe8584caa
	s_mov_b32 s3, 0x3febb67a
	;; [unrolled: 1-line block ×20, first 2 shown]
	s_waitcnt vmcnt(0)
	v_and_b32_e32 v64, 3, v138
	v_lshlrev_b32_e32 v56, 5, v64
	global_load_dwordx4 v[120:123], v56, s[4:5] offset:48
	global_load_dwordx4 v[128:131], v56, s[4:5] offset:32
	s_waitcnt vmcnt(0) lgkmcnt(14)
	v_mul_f64 v[56:57], v[14:15], v[130:131]
	v_fma_f64 v[73:74], v[12:13], v[128:129], -v[56:57]
	v_mul_f64 v[12:13], v[12:13], v[130:131]
	v_fma_f64 v[102:103], v[14:15], v[128:129], v[12:13]
	v_mul_f64 v[12:13], v[30:31], v[122:123]
	v_fma_f64 v[104:105], v[28:29], v[120:121], -v[12:13]
	v_mul_f64 v[12:13], v[28:29], v[122:123]
	v_add_f64 v[14:15], v[73:74], v[104:105]
	v_fma_f64 v[30:31], v[30:31], v[120:121], v[12:13]
	v_mul_f64 v[12:13], v[34:35], v[130:131]
	v_fma_f64 v[14:15], v[14:15], -0.5, v[24:25]
	v_add_f64 v[28:29], v[102:103], -v[30:31]
	v_fma_f64 v[106:107], v[32:33], v[128:129], -v[12:13]
	v_mul_f64 v[12:13], v[32:33], v[130:131]
	v_fma_f64 v[108:109], v[34:35], v[128:129], v[12:13]
	v_mul_f64 v[12:13], v[38:39], v[122:123]
	v_fma_f64 v[110:111], v[36:37], v[120:121], -v[12:13]
	v_mul_f64 v[12:13], v[36:37], v[122:123]
	v_fma_f64 v[112:113], v[38:39], v[120:121], v[12:13]
	s_waitcnt lgkmcnt(13)
	v_mul_f64 v[12:13], v[42:43], v[130:131]
	v_fma_f64 v[114:115], v[40:41], v[128:129], -v[12:13]
	v_mul_f64 v[12:13], v[40:41], v[130:131]
	v_fma_f64 v[116:117], v[42:43], v[128:129], v[12:13]
	s_waitcnt lgkmcnt(12)
	;; [unrolled: 5-line block ×5, first 2 shown]
	v_mul_f64 v[12:13], v[67:68], v[130:131]
	v_fma_f64 v[48:49], v[65:66], v[128:129], -v[12:13]
	v_mul_f64 v[12:13], v[65:66], v[130:131]
	v_add_f64 v[65:66], v[73:74], -v[104:105]
	v_fma_f64 v[50:51], v[67:68], v[128:129], v[12:13]
	s_waitcnt lgkmcnt(6)
	v_mul_f64 v[12:13], v[71:72], v[122:123]
	v_add_f64 v[67:68], v[106:107], v[110:111]
	v_fma_f64 v[52:53], v[69:70], v[120:121], -v[12:13]
	v_mul_f64 v[12:13], v[69:70], v[122:123]
	v_fma_f64 v[67:68], v[67:68], -0.5, v[20:21]
	v_add_f64 v[69:70], v[108:109], -v[112:113]
	v_fma_f64 v[54:55], v[71:72], v[120:121], v[12:13]
	s_waitcnt lgkmcnt(4)
	v_mul_f64 v[12:13], v[86:87], v[130:131]
	v_add_f64 v[71:72], v[108:109], v[112:113]
	v_fma_f64 v[40:41], v[84:85], v[128:129], -v[12:13]
	v_mul_f64 v[12:13], v[84:85], v[130:131]
	v_fma_f64 v[71:72], v[71:72], -0.5, v[22:23]
	v_fma_f64 v[42:43], v[86:87], v[128:129], v[12:13]
	s_waitcnt lgkmcnt(3)
	v_mul_f64 v[12:13], v[90:91], v[122:123]
	v_add_f64 v[86:87], v[116:117], -v[132:133]
	v_fma_f64 v[44:45], v[88:89], v[120:121], -v[12:13]
	v_mul_f64 v[12:13], v[88:89], v[122:123]
	v_fma_f64 v[46:47], v[90:91], v[120:121], v[12:13]
	s_waitcnt lgkmcnt(1)
	v_mul_f64 v[12:13], v[96:97], v[130:131]
	v_add_f64 v[90:91], v[114:115], -v[118:119]
	v_fma_f64 v[32:33], v[94:95], v[128:129], -v[12:13]
	v_mul_f64 v[12:13], v[94:95], v[130:131]
	buffer_store_dword v128, off, s[48:51], 0 offset:848 ; 4-byte Folded Spill
	s_nop 0
	buffer_store_dword v129, off, s[48:51], 0 offset:852 ; 4-byte Folded Spill
	buffer_store_dword v130, off, s[48:51], 0 offset:856 ; 4-byte Folded Spill
	;; [unrolled: 1-line block ×3, first 2 shown]
	v_fma_f64 v[36:37], v[96:97], v[128:129], v[12:13]
	s_waitcnt lgkmcnt(0)
	v_mul_f64 v[12:13], v[100:101], v[122:123]
	v_add_f64 v[96:97], v[58:59], -v[62:63]
	v_fma_f64 v[34:35], v[98:99], v[120:121], -v[12:13]
	v_mul_f64 v[12:13], v[98:99], v[122:123]
	buffer_store_dword v120, off, s[48:51], 0 offset:832 ; 4-byte Folded Spill
	s_nop 0
	buffer_store_dword v121, off, s[48:51], 0 offset:836 ; 4-byte Folded Spill
	buffer_store_dword v122, off, s[48:51], 0 offset:840 ; 4-byte Folded Spill
	;; [unrolled: 1-line block ×3, first 2 shown]
	s_waitcnt lgkmcnt(0)
	; wave barrier
	v_fma_f64 v[38:39], v[100:101], v[120:121], v[12:13]
	v_add_f64 v[12:13], v[24:25], v[73:74]
	v_fma_f64 v[24:25], v[28:29], s[2:3], v[14:15]
	v_fma_f64 v[28:29], v[28:29], s[14:15], v[14:15]
	v_add_f64 v[14:15], v[26:27], v[102:103]
	v_add_f64 v[73:74], v[106:107], -v[110:111]
	v_add_f64 v[12:13], v[12:13], v[104:105]
	v_add_f64 v[14:15], v[14:15], v[30:31]
	;; [unrolled: 1-line block ×3, first 2 shown]
	v_fma_f64 v[30:31], v[30:31], -0.5, v[26:27]
	v_fma_f64 v[26:27], v[65:66], s[14:15], v[30:31]
	v_fma_f64 v[30:31], v[65:66], s[2:3], v[30:31]
	v_add_f64 v[65:66], v[20:21], v[106:107]
	v_fma_f64 v[20:21], v[69:70], s[2:3], v[67:68]
	v_fma_f64 v[69:70], v[69:70], s[14:15], v[67:68]
	v_add_f64 v[67:68], v[22:23], v[108:109]
	;; [unrolled: 3-line block ×3, first 2 shown]
	v_add_f64 v[65:66], v[65:66], v[110:111]
	v_add_f64 v[67:68], v[67:68], v[112:113]
	v_add_f64 v[84:85], v[73:74], v[118:119]
	v_add_f64 v[73:74], v[114:115], v[118:119]
	v_fma_f64 v[73:74], v[73:74], -0.5, v[16:17]
	v_fma_f64 v[16:17], v[86:87], s[2:3], v[73:74]
	v_fma_f64 v[88:89], v[86:87], s[14:15], v[73:74]
	v_add_f64 v[73:74], v[18:19], v[116:117]
	v_add_f64 v[86:87], v[73:74], v[132:133]
	;; [unrolled: 1-line block ×3, first 2 shown]
	v_fma_f64 v[73:74], v[73:74], -0.5, v[18:19]
	v_fma_f64 v[18:19], v[90:91], s[14:15], v[73:74]
	v_fma_f64 v[90:91], v[90:91], s[2:3], v[73:74]
	v_add_f64 v[73:74], v[8:9], v[56:57]
	v_add_f64 v[94:95], v[73:74], v[60:61]
	;; [unrolled: 1-line block ×3, first 2 shown]
	v_add_f64 v[56:57], v[56:57], -v[60:61]
	v_add_f64 v[60:61], v[50:51], -v[54:55]
	v_fma_f64 v[73:74], v[73:74], -0.5, v[8:9]
	v_fma_f64 v[8:9], v[96:97], s[2:3], v[73:74]
	v_fma_f64 v[98:99], v[96:97], s[14:15], v[73:74]
	v_add_f64 v[73:74], v[10:11], v[58:59]
	v_add_f64 v[58:59], v[58:59], v[62:63]
	;; [unrolled: 1-line block ×3, first 2 shown]
	v_fma_f64 v[58:59], v[58:59], -0.5, v[10:11]
	v_fma_f64 v[10:11], v[56:57], s[14:15], v[58:59]
	v_fma_f64 v[100:101], v[56:57], s[2:3], v[58:59]
	v_add_f64 v[58:59], v[48:49], v[52:53]
	v_add_f64 v[56:57], v[4:5], v[48:49]
	v_add_f64 v[48:49], v[48:49], -v[52:53]
	v_fma_f64 v[58:59], v[58:59], -0.5, v[4:5]
	v_add_f64 v[56:57], v[56:57], v[52:53]
	v_add_f64 v[52:53], v[42:43], -v[46:47]
	v_fma_f64 v[4:5], v[60:61], s[2:3], v[58:59]
	v_fma_f64 v[60:61], v[60:61], s[14:15], v[58:59]
	v_add_f64 v[58:59], v[6:7], v[50:51]
	v_add_f64 v[50:51], v[50:51], v[54:55]
	;; [unrolled: 1-line block ×3, first 2 shown]
	v_fma_f64 v[50:51], v[50:51], -0.5, v[6:7]
	v_fma_f64 v[6:7], v[48:49], s[14:15], v[50:51]
	v_fma_f64 v[62:63], v[48:49], s[2:3], v[50:51]
	v_add_f64 v[50:51], v[40:41], v[44:45]
	v_add_f64 v[48:49], v[0:1], v[40:41]
	v_add_f64 v[40:41], v[40:41], -v[44:45]
	v_fma_f64 v[50:51], v[50:51], -0.5, v[0:1]
	v_add_f64 v[48:49], v[48:49], v[44:45]
	v_fma_f64 v[0:1], v[52:53], s[2:3], v[50:51]
	v_fma_f64 v[52:53], v[52:53], s[14:15], v[50:51]
	v_add_f64 v[50:51], v[2:3], v[42:43]
	v_add_f64 v[42:43], v[42:43], v[46:47]
	;; [unrolled: 1-line block ×3, first 2 shown]
	v_fma_f64 v[42:43], v[42:43], -0.5, v[2:3]
	v_add_f64 v[46:47], v[36:37], -v[38:39]
	v_fma_f64 v[2:3], v[40:41], s[14:15], v[42:43]
	v_fma_f64 v[54:55], v[40:41], s[2:3], v[42:43]
	v_add_f64 v[42:43], v[32:33], v[34:35]
	v_add_f64 v[40:41], v[80:81], v[32:33]
	v_add_f64 v[32:33], v[32:33], -v[34:35]
	v_fma_f64 v[42:43], v[42:43], -0.5, v[80:81]
	v_add_f64 v[40:41], v[40:41], v[34:35]
	v_fma_f64 v[44:45], v[46:47], s[2:3], v[42:43]
	v_fma_f64 v[80:81], v[46:47], s[14:15], v[42:43]
	v_add_f64 v[42:43], v[82:83], v[36:37]
	v_add_f64 v[36:37], v[36:37], v[38:39]
	;; [unrolled: 1-line block ×3, first 2 shown]
	v_fma_f64 v[36:37], v[36:37], -0.5, v[82:83]
	v_fma_f64 v[46:47], v[32:33], s[14:15], v[36:37]
	v_fma_f64 v[82:83], v[32:33], s[2:3], v[36:37]
	v_lshrrev_b32_e32 v32, 2, v138
	v_mul_u32_u24_e32 v32, 12, v32
	v_or_b32_e32 v32, v32, v64
	v_lshlrev_b32_e32 v32, 4, v32
	ds_write_b128 v32, v[12:15]
	ds_write_b128 v32, v[24:27] offset:64
	v_lshrrev_b32_e32 v12, 2, v76
	v_mul_u32_u24_e32 v12, 12, v12
	v_or_b32_e32 v12, v12, v64
	v_lshlrev_b32_e32 v12, 4, v12
	buffer_store_dword v32, off, s[48:51], 0 offset:420 ; 4-byte Folded Spill
	ds_write_b128 v32, v[28:31] offset:128
	ds_write_b128 v12, v[65:68]
	ds_write_b128 v12, v[20:23] offset:64
	buffer_store_dword v12, off, s[48:51], 0 offset:424 ; 4-byte Folded Spill
	ds_write_b128 v12, v[69:72] offset:128
	v_lshrrev_b32_e32 v12, 2, v77
	v_mul_u32_u24_e32 v12, 12, v12
	v_or_b32_e32 v12, v12, v64
	v_lshlrev_b32_e32 v12, 4, v12
	ds_write_b128 v12, v[84:87]
	ds_write_b128 v12, v[16:19] offset:64
	buffer_store_dword v12, off, s[48:51], 0 offset:428 ; 4-byte Folded Spill
	ds_write_b128 v12, v[88:91] offset:128
	v_lshrrev_b32_e32 v12, 2, v93
	v_mul_u32_u24_e32 v12, 12, v12
	v_or_b32_e32 v12, v12, v64
	v_lshlrev_b32_e32 v12, 4, v12
	ds_write_b128 v12, v[94:97]
	ds_write_b128 v12, v[8:11] offset:64
	v_lshrrev_b32_e32 v8, 2, v92
	v_mul_u32_u24_e32 v8, 12, v8
	v_or_b32_e32 v8, v8, v64
	v_lshlrev_b32_e32 v8, 4, v8
	buffer_store_dword v12, off, s[48:51], 0 offset:432 ; 4-byte Folded Spill
	ds_write_b128 v12, v[98:101] offset:128
	ds_write_b128 v8, v[56:59]
	ds_write_b128 v8, v[4:7] offset:64
	v_lshrrev_b32_e32 v4, 2, v79
	v_mul_u32_u24_e32 v4, 12, v4
	v_or_b32_e32 v4, v4, v64
	v_lshlrev_b32_e32 v4, 4, v4
	buffer_store_dword v8, off, s[48:51], 0 offset:436 ; 4-byte Folded Spill
	ds_write_b128 v8, v[60:63] offset:128
	ds_write_b128 v4, v[48:51]
	ds_write_b128 v4, v[0:3] offset:64
	v_lshrrev_b32_e32 v0, 2, v78
	v_mul_u32_u24_e32 v0, 12, v0
	v_or_b32_e32 v0, v0, v64
	v_lshlrev_b32_e32 v0, 4, v0
	s_movk_i32 s2, 0xab
	buffer_store_dword v4, off, s[48:51], 0 offset:440 ; 4-byte Folded Spill
	ds_write_b128 v4, v[52:55] offset:128
	ds_write_b128 v0, v[40:43]
	ds_write_b128 v0, v[44:47] offset:64
	v_mul_lo_u16_sdwa v44, v138, s2 dst_sel:DWORD dst_unused:UNUSED_PAD src0_sel:BYTE_0 src1_sel:DWORD
	v_lshrrev_b16_e32 v70, 11, v44
	v_mul_lo_u16_e32 v44, 12, v70
	v_sub_u16_e32 v44, v138, v44
	v_mov_b32_e32 v79, s5
	v_and_b32_e32 v71, 0xff, v44
	s_movk_i32 s3, 0x60
	v_mov_b32_e32 v78, s4
	v_mad_u64_u32 v[44:45], s[14:15], v71, s3, v[78:79]
	buffer_store_dword v0, off, s[48:51], 0 offset:444 ; 4-byte Folded Spill
	ds_write_b128 v0, v[80:83] offset:128
	s_waitcnt lgkmcnt(0)
	; wave barrier
	s_waitcnt lgkmcnt(0)
	ds_read_b128 v[0:3], v168
	ds_read_b128 v[28:31], v168 offset:2112
	ds_read_b128 v[32:35], v168 offset:4224
	;; [unrolled: 1-line block ×20, first 2 shown]
	global_load_dwordx4 v[72:75], v[44:45], off offset:208
	global_load_dwordx4 v[56:59], v[44:45], off offset:192
	;; [unrolled: 1-line block ×4, first 2 shown]
	s_waitcnt vmcnt(0) lgkmcnt(14)
	v_mul_f64 v[46:47], v[30:31], v[50:51]
	v_fma_f64 v[46:47], v[28:29], v[48:49], -v[46:47]
	v_mul_f64 v[28:29], v[28:29], v[50:51]
	buffer_store_dword v48, off, s[48:51], 0 offset:512 ; 4-byte Folded Spill
	s_nop 0
	buffer_store_dword v49, off, s[48:51], 0 offset:516 ; 4-byte Folded Spill
	buffer_store_dword v50, off, s[48:51], 0 offset:520 ; 4-byte Folded Spill
	buffer_store_dword v51, off, s[48:51], 0 offset:524 ; 4-byte Folded Spill
	v_fma_f64 v[52:53], v[30:31], v[48:49], v[28:29]
	v_mul_f64 v[28:29], v[34:35], v[114:115]
	v_fma_f64 v[48:49], v[32:33], v[112:113], -v[28:29]
	v_mul_f64 v[28:29], v[32:33], v[114:115]
	buffer_store_dword v112, off, s[48:51], 0 offset:480 ; 4-byte Folded Spill
	s_nop 0
	buffer_store_dword v113, off, s[48:51], 0 offset:484 ; 4-byte Folded Spill
	buffer_store_dword v114, off, s[48:51], 0 offset:488 ; 4-byte Folded Spill
	buffer_store_dword v115, off, s[48:51], 0 offset:492 ; 4-byte Folded Spill
	v_fma_f64 v[54:55], v[34:35], v[112:113], v[28:29]
	;; [unrolled: 9-line block ×3, first 2 shown]
	v_mul_f64 v[28:29], v[42:43], v[74:75]
	v_fma_f64 v[58:59], v[40:41], v[72:73], -v[28:29]
	v_mul_f64 v[28:29], v[40:41], v[74:75]
	buffer_store_dword v72, off, s[48:51], 0 offset:448 ; 4-byte Folded Spill
	s_nop 0
	buffer_store_dword v73, off, s[48:51], 0 offset:452 ; 4-byte Folded Spill
	buffer_store_dword v74, off, s[48:51], 0 offset:456 ; 4-byte Folded Spill
	buffer_store_dword v75, off, s[48:51], 0 offset:460 ; 4-byte Folded Spill
	global_load_dwordx4 v[30:33], v[44:45], off offset:240
	global_load_dwordx4 v[34:37], v[44:45], off offset:224
	v_fma_f64 v[60:61], v[42:43], v[72:73], v[28:29]
	s_waitcnt vmcnt(0)
	v_mul_f64 v[28:29], v[64:65], v[36:37]
	v_fma_f64 v[112:113], v[62:63], v[34:35], -v[28:29]
	v_mul_f64 v[28:29], v[62:63], v[36:37]
	buffer_store_dword v34, off, s[48:51], 0 offset:544 ; 4-byte Folded Spill
	s_nop 0
	buffer_store_dword v35, off, s[48:51], 0 offset:548 ; 4-byte Folded Spill
	buffer_store_dword v36, off, s[48:51], 0 offset:552 ; 4-byte Folded Spill
	;; [unrolled: 1-line block ×3, first 2 shown]
	v_fma_f64 v[114:115], v[64:65], v[34:35], v[28:29]
	v_mul_f64 v[28:29], v[68:69], v[32:33]
	v_fma_f64 v[116:117], v[66:67], v[30:31], -v[28:29]
	v_mul_f64 v[28:29], v[66:67], v[32:33]
	buffer_store_dword v30, off, s[48:51], 0 offset:496 ; 4-byte Folded Spill
	s_nop 0
	buffer_store_dword v31, off, s[48:51], 0 offset:500 ; 4-byte Folded Spill
	buffer_store_dword v32, off, s[48:51], 0 offset:504 ; 4-byte Folded Spill
	;; [unrolled: 1-line block ×3, first 2 shown]
	v_fma_f64 v[118:119], v[68:69], v[30:31], v[28:29]
	v_mul_lo_u16_sdwa v28, v76, s2 dst_sel:DWORD dst_unused:UNUSED_PAD src0_sel:BYTE_0 src1_sel:DWORD
	v_lshrrev_b16_e32 v72, 11, v28
	v_mul_lo_u16_e32 v28, 12, v72
	v_sub_u16_e32 v28, v76, v28
	v_and_b32_e32 v73, 0xff, v28
	v_mad_u64_u32 v[34:35], s[14:15], v73, s3, v[78:79]
	global_load_dwordx4 v[62:65], v[34:35], off offset:208
	global_load_dwordx4 v[42:45], v[34:35], off offset:192
	;; [unrolled: 1-line block ×4, first 2 shown]
	s_mov_b32 s14, 0x37e14327
	s_mov_b32 s15, 0x3fe948f6
	s_waitcnt vmcnt(1) lgkmcnt(11)
	v_mul_f64 v[32:33], v[92:93], v[40:41]
	s_waitcnt vmcnt(0)
	v_mul_f64 v[28:29], v[90:91], v[68:69]
	v_mul_f64 v[30:31], v[88:89], v[68:69]
	v_fma_f64 v[28:29], v[88:89], v[66:67], -v[28:29]
	buffer_store_dword v66, off, s[48:51], 0 offset:608 ; 4-byte Folded Spill
	s_nop 0
	buffer_store_dword v67, off, s[48:51], 0 offset:612 ; 4-byte Folded Spill
	buffer_store_dword v68, off, s[48:51], 0 offset:616 ; 4-byte Folded Spill
	;; [unrolled: 1-line block ×3, first 2 shown]
	v_fma_f64 v[36:37], v[90:91], v[66:67], v[30:31]
	v_mul_f64 v[30:31], v[94:95], v[40:41]
	v_fma_f64 v[30:31], v[92:93], v[38:39], -v[30:31]
	buffer_store_dword v38, off, s[48:51], 0 offset:592 ; 4-byte Folded Spill
	s_nop 0
	buffer_store_dword v39, off, s[48:51], 0 offset:596 ; 4-byte Folded Spill
	buffer_store_dword v40, off, s[48:51], 0 offset:600 ; 4-byte Folded Spill
	;; [unrolled: 1-line block ×3, first 2 shown]
	s_waitcnt lgkmcnt(10)
	v_mul_f64 v[40:41], v[96:97], v[44:45]
	v_fma_f64 v[38:39], v[94:95], v[38:39], v[32:33]
	v_mul_f64 v[32:33], v[98:99], v[44:45]
	v_fma_f64 v[32:33], v[96:97], v[42:43], -v[32:33]
	buffer_store_dword v42, off, s[48:51], 0 offset:560 ; 4-byte Folded Spill
	s_nop 0
	buffer_store_dword v43, off, s[48:51], 0 offset:564 ; 4-byte Folded Spill
	buffer_store_dword v44, off, s[48:51], 0 offset:568 ; 4-byte Folded Spill
	;; [unrolled: 1-line block ×3, first 2 shown]
	s_waitcnt lgkmcnt(9)
	v_mul_f64 v[44:45], v[100:101], v[64:65]
	v_fma_f64 v[40:41], v[98:99], v[42:43], v[40:41]
	v_mul_f64 v[42:43], v[102:103], v[64:65]
	v_fma_f64 v[42:43], v[100:101], v[62:63], -v[42:43]
	buffer_store_dword v62, off, s[48:51], 0 offset:528 ; 4-byte Folded Spill
	s_nop 0
	buffer_store_dword v63, off, s[48:51], 0 offset:532 ; 4-byte Folded Spill
	buffer_store_dword v64, off, s[48:51], 0 offset:536 ; 4-byte Folded Spill
	;; [unrolled: 1-line block ×3, first 2 shown]
	global_load_dwordx4 v[88:91], v[34:35], off offset:240
	s_nop 0
	global_load_dwordx4 v[64:67], v[34:35], off offset:224
	v_fma_f64 v[44:45], v[102:103], v[62:63], v[44:45]
	s_waitcnt vmcnt(0) lgkmcnt(8)
	v_mul_f64 v[34:35], v[106:107], v[66:67]
	v_fma_f64 v[62:63], v[104:105], v[64:65], -v[34:35]
	v_mul_f64 v[34:35], v[104:105], v[66:67]
	buffer_store_dword v64, off, s[48:51], 0 offset:640 ; 4-byte Folded Spill
	s_nop 0
	buffer_store_dword v65, off, s[48:51], 0 offset:644 ; 4-byte Folded Spill
	buffer_store_dword v66, off, s[48:51], 0 offset:648 ; 4-byte Folded Spill
	;; [unrolled: 1-line block ×3, first 2 shown]
	v_fma_f64 v[64:65], v[106:107], v[64:65], v[34:35]
	s_waitcnt lgkmcnt(7)
	v_mul_f64 v[34:35], v[110:111], v[90:91]
	v_fma_f64 v[66:67], v[108:109], v[88:89], -v[34:35]
	v_mul_f64 v[34:35], v[108:109], v[90:91]
	buffer_store_dword v88, off, s[48:51], 0 offset:576 ; 4-byte Folded Spill
	s_nop 0
	buffer_store_dword v89, off, s[48:51], 0 offset:580 ; 4-byte Folded Spill
	buffer_store_dword v90, off, s[48:51], 0 offset:584 ; 4-byte Folded Spill
	;; [unrolled: 1-line block ×3, first 2 shown]
	v_fma_f64 v[68:69], v[110:111], v[88:89], v[34:35]
	v_mul_lo_u16_sdwa v34, v77, s2 dst_sel:DWORD dst_unused:UNUSED_PAD src0_sel:BYTE_0 src1_sel:DWORD
	v_lshrrev_b16_e32 v74, 11, v34
	v_mul_lo_u16_e32 v34, 12, v74
	v_sub_u16_e32 v34, v77, v34
	v_and_b32_e32 v75, 0xff, v34
	v_mad_u64_u32 v[77:78], s[2:3], v75, s3, v[78:79]
	global_load_dwordx4 v[88:91], v[77:78], off offset:208
	global_load_dwordx4 v[92:95], v[77:78], off offset:192
	;; [unrolled: 1-line block ×4, first 2 shown]
	s_mov_b32 s2, 0x36b3c0b5
	s_mov_b32 s3, 0x3fac98ee
	s_waitcnt vmcnt(0) lgkmcnt(5)
	v_mul_f64 v[34:35], v[26:27], v[102:103]
	v_fma_f64 v[34:35], v[24:25], v[100:101], -v[34:35]
	v_mul_f64 v[24:25], v[24:25], v[102:103]
	buffer_store_dword v100, off, s[48:51], 0 offset:704 ; 4-byte Folded Spill
	s_nop 0
	buffer_store_dword v101, off, s[48:51], 0 offset:708 ; 4-byte Folded Spill
	buffer_store_dword v102, off, s[48:51], 0 offset:712 ; 4-byte Folded Spill
	buffer_store_dword v103, off, s[48:51], 0 offset:716 ; 4-byte Folded Spill
	v_fma_f64 v[26:27], v[26:27], v[100:101], v[24:25]
	s_waitcnt lgkmcnt(4)
	v_mul_f64 v[24:25], v[22:23], v[98:99]
	v_fma_f64 v[24:25], v[20:21], v[96:97], -v[24:25]
	v_mul_f64 v[20:21], v[20:21], v[98:99]
	buffer_store_dword v96, off, s[48:51], 0 offset:688 ; 4-byte Folded Spill
	s_nop 0
	buffer_store_dword v97, off, s[48:51], 0 offset:692 ; 4-byte Folded Spill
	buffer_store_dword v98, off, s[48:51], 0 offset:696 ; 4-byte Folded Spill
	buffer_store_dword v99, off, s[48:51], 0 offset:700 ; 4-byte Folded Spill
	v_fma_f64 v[22:23], v[22:23], v[96:97], v[20:21]
	s_waitcnt lgkmcnt(3)
	;; [unrolled: 10-line block ×3, first 2 shown]
	v_mul_f64 v[18:19], v[14:15], v[90:91]
	v_fma_f64 v[18:19], v[12:13], v[88:89], -v[18:19]
	v_mul_f64 v[12:13], v[12:13], v[90:91]
	buffer_store_dword v88, off, s[48:51], 0 offset:624 ; 4-byte Folded Spill
	s_nop 0
	buffer_store_dword v89, off, s[48:51], 0 offset:628 ; 4-byte Folded Spill
	buffer_store_dword v90, off, s[48:51], 0 offset:632 ; 4-byte Folded Spill
	;; [unrolled: 1-line block ×3, first 2 shown]
	v_fma_f64 v[12:13], v[14:15], v[88:89], v[12:13]
	global_load_dwordx4 v[88:91], v[77:78], off offset:240
	global_load_dwordx4 v[92:95], v[77:78], off offset:224
	s_waitcnt vmcnt(0) lgkmcnt(1)
	v_mul_f64 v[14:15], v[10:11], v[94:95]
	v_fma_f64 v[14:15], v[8:9], v[92:93], -v[14:15]
	v_mul_f64 v[8:9], v[8:9], v[94:95]
	buffer_store_dword v92, off, s[48:51], 0 offset:720 ; 4-byte Folded Spill
	s_nop 0
	buffer_store_dword v93, off, s[48:51], 0 offset:724 ; 4-byte Folded Spill
	buffer_store_dword v94, off, s[48:51], 0 offset:728 ; 4-byte Folded Spill
	;; [unrolled: 1-line block ×3, first 2 shown]
	v_fma_f64 v[77:78], v[10:11], v[92:93], v[8:9]
	s_waitcnt lgkmcnt(0)
	v_mul_f64 v[8:9], v[6:7], v[90:91]
	v_add_f64 v[10:11], v[46:47], -v[116:117]
	v_add_f64 v[92:93], v[56:57], v[60:61]
	v_add_f64 v[56:57], v[60:61], -v[56:57]
	v_fma_f64 v[96:97], v[4:5], v[88:89], -v[8:9]
	v_mul_f64 v[4:5], v[4:5], v[90:91]
	buffer_store_dword v88, off, s[48:51], 0 offset:672 ; 4-byte Folded Spill
	s_nop 0
	buffer_store_dword v89, off, s[48:51], 0 offset:676 ; 4-byte Folded Spill
	buffer_store_dword v90, off, s[48:51], 0 offset:680 ; 4-byte Folded Spill
	;; [unrolled: 1-line block ×3, first 2 shown]
	v_add_f64 v[8:9], v[52:53], v[118:119]
	v_add_f64 v[90:91], v[50:51], v[58:59]
	v_add_f64 v[50:51], v[58:59], -v[50:51]
	s_waitcnt lgkmcnt(0)
	; wave barrier
	v_add_f64 v[100:101], v[8:9], -v[92:93]
	v_fma_f64 v[4:5], v[6:7], v[88:89], v[4:5]
	v_add_f64 v[6:7], v[46:47], v[116:117]
	v_add_f64 v[46:47], v[52:53], -v[118:119]
	v_add_f64 v[52:53], v[48:49], v[112:113]
	v_add_f64 v[88:89], v[54:55], v[114:115]
	v_add_f64 v[48:49], v[48:49], -v[112:113]
	v_add_f64 v[54:55], v[54:55], -v[114:115]
	v_add_f64 v[58:59], v[52:53], v[6:7]
	v_add_f64 v[60:61], v[88:89], v[8:9]
	v_add_f64 v[94:95], v[52:53], -v[6:7]
	v_add_f64 v[98:99], v[88:89], -v[8:9]
	;; [unrolled: 1-line block ×5, first 2 shown]
	v_add_f64 v[8:9], v[50:51], v[48:49]
	v_add_f64 v[102:103], v[56:57], v[54:55]
	v_add_f64 v[104:105], v[50:51], -v[48:49]
	v_add_f64 v[106:107], v[56:57], -v[54:55]
	;; [unrolled: 1-line block ×4, first 2 shown]
	v_add_f64 v[58:59], v[90:91], v[58:59]
	v_add_f64 v[60:61], v[92:93], v[60:61]
	v_add_f64 v[50:51], v[10:11], -v[50:51]
	v_add_f64 v[56:57], v[46:47], -v[56:57]
	v_add_f64 v[90:91], v[8:9], v[10:11]
	v_add_f64 v[46:47], v[102:103], v[46:47]
	v_mul_f64 v[92:93], v[88:89], s[2:3]
	v_mul_f64 v[102:103], v[106:107], s[20:21]
	v_add_f64 v[8:9], v[0:1], v[58:59]
	v_add_f64 v[10:11], v[2:3], v[60:61]
	v_mul_f64 v[0:1], v[6:7], s[14:15]
	v_mul_f64 v[2:3], v[100:101], s[14:15]
	v_mul_f64 v[6:7], v[52:53], s[2:3]
	v_mul_f64 v[100:101], v[104:105], s[20:21]
	v_mul_f64 v[104:105], v[48:49], s[18:19]
	v_mul_f64 v[106:107], v[54:55], s[18:19]
	v_fma_f64 v[58:59], v[58:59], s[22:23], v[8:9]
	v_fma_f64 v[60:61], v[60:61], s[22:23], v[10:11]
	;; [unrolled: 1-line block ×4, first 2 shown]
	v_fma_f64 v[6:7], v[94:95], s[24:25], -v[6:7]
	v_fma_f64 v[92:93], v[98:99], s[24:25], -v[92:93]
	;; [unrolled: 1-line block ×4, first 2 shown]
	v_fma_f64 v[94:95], v[50:51], s[30:31], v[100:101]
	v_fma_f64 v[98:99], v[56:57], s[30:31], v[102:103]
	v_fma_f64 v[48:49], v[48:49], s[18:19], -v[100:101]
	v_fma_f64 v[54:55], v[54:55], s[18:19], -v[102:103]
	;; [unrolled: 1-line block ×4, first 2 shown]
	v_add_f64 v[100:101], v[52:53], v[58:59]
	v_add_f64 v[102:103], v[88:89], v[60:61]
	v_add_f64 v[6:7], v[6:7], v[58:59]
	v_add_f64 v[88:89], v[92:93], v[60:61]
	v_add_f64 v[0:1], v[0:1], v[58:59]
	v_add_f64 v[2:3], v[2:3], v[60:61]
	v_fma_f64 v[94:95], v[90:91], s[26:27], v[94:95]
	v_fma_f64 v[92:93], v[46:47], s[26:27], v[98:99]
	v_fma_f64 v[60:61], v[90:91], s[26:27], v[48:49]
	v_fma_f64 v[58:59], v[46:47], s[26:27], v[54:55]
	v_fma_f64 v[90:91], v[90:91], s[26:27], v[50:51]
	v_fma_f64 v[98:99], v[46:47], s[26:27], v[56:57]
	v_add_f64 v[48:49], v[102:103], -v[94:95]
	v_add_f64 v[46:47], v[92:93], v[100:101]
	v_add_f64 v[56:57], v[60:61], v[88:89]
	v_add_f64 v[54:55], v[6:7], -v[58:59]
	v_add_f64 v[52:53], v[2:3], -v[90:91]
	v_add_f64 v[50:51], v[98:99], v[0:1]
	v_add_f64 v[58:59], v[58:59], v[6:7]
	v_add_f64 v[60:61], v[88:89], -v[60:61]
	v_add_f64 v[88:89], v[0:1], -v[98:99]
	v_add_f64 v[90:91], v[90:91], v[2:3]
	v_add_f64 v[0:1], v[28:29], v[66:67]
	;; [unrolled: 1-line block ×3, first 2 shown]
	v_add_f64 v[6:7], v[28:29], -v[66:67]
	v_add_f64 v[28:29], v[36:37], -v[68:69]
	v_add_f64 v[36:37], v[30:31], v[62:63]
	v_add_f64 v[66:67], v[38:39], v[64:65]
	v_add_f64 v[30:31], v[30:31], -v[62:63]
	v_add_f64 v[38:39], v[38:39], -v[64:65]
	v_add_f64 v[62:63], v[32:33], v[42:43]
	v_add_f64 v[64:65], v[40:41], v[44:45]
	v_add_f64 v[32:33], v[42:43], -v[32:33]
	v_add_f64 v[40:41], v[44:45], -v[40:41]
	v_add_f64 v[42:43], v[36:37], v[0:1]
	v_add_f64 v[44:45], v[66:67], v[2:3]
	v_add_f64 v[92:93], v[100:101], -v[92:93]
	v_add_f64 v[94:95], v[94:95], v[102:103]
	v_add_f64 v[68:69], v[36:37], -v[0:1]
	v_add_f64 v[98:99], v[66:67], -v[2:3]
	;; [unrolled: 1-line block ×6, first 2 shown]
	v_add_f64 v[36:37], v[32:33], v[30:31]
	v_add_f64 v[102:103], v[40:41], v[38:39]
	v_add_f64 v[104:105], v[32:33], -v[30:31]
	v_add_f64 v[106:107], v[40:41], -v[38:39]
	;; [unrolled: 1-line block ×4, first 2 shown]
	v_add_f64 v[42:43], v[62:63], v[42:43]
	v_add_f64 v[44:45], v[64:65], v[44:45]
	v_add_f64 v[32:33], v[6:7], -v[32:33]
	v_add_f64 v[40:41], v[28:29], -v[40:41]
	v_add_f64 v[6:7], v[36:37], v[6:7]
	v_add_f64 v[28:29], v[102:103], v[28:29]
	v_mul_f64 v[0:1], v[0:1], s[14:15]
	v_mul_f64 v[2:3], v[2:3], s[14:15]
	v_add_f64 v[36:37], v[84:85], v[42:43]
	v_add_f64 v[38:39], v[86:87], v[44:45]
	v_mul_f64 v[62:63], v[100:101], s[2:3]
	v_mul_f64 v[64:65], v[66:67], s[2:3]
	;; [unrolled: 1-line block ×6, first 2 shown]
	v_fma_f64 v[42:43], v[42:43], s[22:23], v[36:37]
	v_fma_f64 v[44:45], v[44:45], s[22:23], v[38:39]
	;; [unrolled: 1-line block ×4, first 2 shown]
	v_fma_f64 v[62:63], v[68:69], s[24:25], -v[62:63]
	v_fma_f64 v[64:65], v[98:99], s[24:25], -v[64:65]
	;; [unrolled: 1-line block ×4, first 2 shown]
	v_fma_f64 v[68:69], v[32:33], s[30:31], v[84:85]
	v_fma_f64 v[98:99], v[40:41], s[30:31], v[86:87]
	v_fma_f64 v[30:31], v[30:31], s[18:19], -v[84:85]
	v_fma_f64 v[84:85], v[108:109], s[18:19], -v[86:87]
	;; [unrolled: 1-line block ×4, first 2 shown]
	v_add_f64 v[86:87], v[100:101], v[42:43]
	v_add_f64 v[100:101], v[66:67], v[44:45]
	;; [unrolled: 1-line block ×5, first 2 shown]
	v_fma_f64 v[44:45], v[6:7], s[26:27], v[68:69]
	v_fma_f64 v[98:99], v[28:29], s[26:27], v[98:99]
	;; [unrolled: 1-line block ×6, first 2 shown]
	v_add_f64 v[102:103], v[62:63], v[42:43]
	v_add_f64 v[32:33], v[22:23], v[77:78]
	v_add_f64 v[22:23], v[22:23], -v[77:78]
	v_add_f64 v[40:41], v[98:99], v[86:87]
	v_add_f64 v[68:69], v[30:31], v[104:105]
	v_add_f64 v[249:250], v[104:105], -v[30:31]
	v_add_f64 v[64:65], v[2:3], -v[6:7]
	v_add_f64 v[62:63], v[28:29], v[0:1]
	v_add_f64 v[252:253], v[0:1], -v[28:29]
	v_add_f64 v[254:255], v[6:7], v[2:3]
	v_add_f64 v[6:7], v[34:35], v[96:97]
	;; [unrolled: 1-line block ×3, first 2 shown]
	v_add_f64 v[4:5], v[26:27], -v[4:5]
	v_add_f64 v[26:27], v[24:25], v[14:15]
	v_add_f64 v[30:31], v[34:35], -v[96:97]
	v_add_f64 v[14:15], v[24:25], -v[14:15]
	v_add_f64 v[24:25], v[20:21], v[18:19]
	v_add_f64 v[34:35], v[16:17], v[12:13]
	v_add_f64 v[18:19], v[18:19], -v[20:21]
	v_add_f64 v[12:13], v[12:13], -v[16:17]
	v_add_f64 v[20:21], v[32:33], v[28:29]
	;; [unrolled: 4-line block ×3, first 2 shown]
	v_add_f64 v[0:1], v[86:87], -v[98:99]
	v_add_f64 v[2:3], v[44:45], v[100:101]
	v_add_f64 v[44:45], v[26:27], -v[6:7]
	v_add_f64 v[77:78], v[32:33], -v[28:29]
	;; [unrolled: 1-line block ×6, first 2 shown]
	v_add_f64 v[6:7], v[18:19], v[14:15]
	v_add_f64 v[86:87], v[12:13], v[22:23]
	v_add_f64 v[96:97], v[18:19], -v[14:15]
	v_add_f64 v[98:99], v[12:13], -v[22:23]
	v_add_f64 v[22:23], v[22:23], -v[4:5]
	v_add_f64 v[16:17], v[24:25], v[16:17]
	v_add_f64 v[20:21], v[34:35], v[20:21]
	v_add_f64 v[14:15], v[14:15], -v[30:31]
	v_add_f64 v[18:19], v[30:31], -v[18:19]
	;; [unrolled: 1-line block ×3, first 2 shown]
	v_add_f64 v[24:25], v[6:7], v[30:31]
	v_add_f64 v[30:31], v[86:87], v[4:5]
	v_mul_f64 v[34:35], v[84:85], s[14:15]
	v_add_f64 v[4:5], v[80:81], v[16:17]
	v_add_f64 v[6:7], v[82:83], v[20:21]
	v_mul_f64 v[28:29], v[28:29], s[14:15]
	v_mul_f64 v[79:80], v[26:27], s[2:3]
	;; [unrolled: 1-line block ×7, first 2 shown]
	v_fma_f64 v[16:17], v[16:17], s[22:23], v[4:5]
	v_fma_f64 v[20:21], v[20:21], s[22:23], v[6:7]
	;; [unrolled: 1-line block ×4, first 2 shown]
	v_fma_f64 v[79:80], v[44:45], s[24:25], -v[79:80]
	v_fma_f64 v[81:82], v[77:78], s[24:25], -v[81:82]
	;; [unrolled: 1-line block ×4, first 2 shown]
	v_fma_f64 v[44:45], v[18:19], s[30:31], v[83:84]
	v_fma_f64 v[77:78], v[12:13], s[30:31], v[85:86]
	v_fma_f64 v[14:15], v[14:15], s[18:19], -v[83:84]
	v_fma_f64 v[22:23], v[22:23], s[18:19], -v[85:86]
	;; [unrolled: 1-line block ×4, first 2 shown]
	v_add_f64 v[83:84], v[26:27], v[16:17]
	v_add_f64 v[85:86], v[32:33], v[20:21]
	;; [unrolled: 1-line block ×6, first 2 shown]
	v_fma_f64 v[44:45], v[24:25], s[26:27], v[44:45]
	v_fma_f64 v[77:78], v[30:31], s[26:27], v[77:78]
	;; [unrolled: 1-line block ×6, first 2 shown]
	v_cmp_gt_u16_e64 s[2:3], 40, v138
	v_add_f64 v[14:15], v[85:86], -v[44:45]
	v_add_f64 v[12:13], v[77:78], v[83:84]
	v_add_f64 v[22:23], v[28:29], v[32:33]
	v_add_f64 v[20:21], v[26:27], -v[81:82]
	v_add_f64 v[16:17], v[30:31], v[34:35]
	v_add_f64 v[24:25], v[81:82], v[26:27]
	v_add_f64 v[26:27], v[32:33], -v[28:29]
	v_add_f64 v[28:29], v[34:35], -v[30:31]
	v_add_f64 v[32:33], v[83:84], -v[77:78]
	v_add_f64 v[34:35], v[44:45], v[85:86]
	v_add_f64 v[18:19], v[79:80], -v[96:97]
	v_mul_u32_u24_e32 v44, 0x54, v70
	v_add_lshl_u32 v44, v44, v71, 4
	ds_write_b128 v44, v[8:11]
	ds_write_b128 v44, v[46:49] offset:192
	ds_write_b128 v44, v[50:53] offset:384
	;; [unrolled: 1-line block ×5, first 2 shown]
	v_mul_u32_u24_e32 v8, 0x54, v72
	v_add_f64 v[30:31], v[96:97], v[79:80]
	v_add_lshl_u32 v8, v8, v73, 4
	buffer_store_dword v44, off, s[48:51], 0 offset:736 ; 4-byte Folded Spill
	ds_write_b128 v44, v[92:95] offset:1152
	ds_write_b128 v8, v[36:39]
	ds_write_b128 v8, v[40:43] offset:192
	ds_write_b128 v8, v[62:65] offset:384
	;; [unrolled: 1-line block ×5, first 2 shown]
	buffer_store_dword v8, off, s[48:51], 0 offset:740 ; 4-byte Folded Spill
	ds_write_b128 v8, v[0:3] offset:1152
	v_mul_u32_u24_e32 v8, 0x54, v74
	v_add_lshl_u32 v8, v8, v75, 4
	ds_write_b128 v8, v[4:7]
	ds_write_b128 v8, v[12:15] offset:192
	ds_write_b128 v8, v[16:19] offset:384
	;; [unrolled: 1-line block ×5, first 2 shown]
	buffer_store_dword v8, off, s[48:51], 0 offset:744 ; 4-byte Folded Spill
	ds_write_b128 v8, v[32:35] offset:1152
	s_waitcnt lgkmcnt(0)
	; wave barrier
	s_waitcnt lgkmcnt(0)
	ds_read_b128 v[8:11], v168
	ds_read_b128 v[72:75], v168 offset:1344
	ds_read_b128 v[68:71], v168 offset:2688
	;; [unrolled: 1-line block ×10, first 2 shown]
	s_and_saveexec_b64 s[14:15], s[2:3]
	s_cbranch_execz .LBB0_13
; %bb.12:
	ds_read_b128 v[247:250], v168 offset:704
	ds_read_b128 v[252:255], v168 offset:2048
	;; [unrolled: 1-line block ×11, first 2 shown]
.LBB0_13:
	s_or_b64 exec, exec, s[14:15]
	buffer_load_dword v36, off, s[48:51], 0 ; 4-byte Folded Reload
	v_mov_b32_e32 v78, s5
	s_movk_i32 s14, 0xa0
	s_mov_b32 s26, 0x8eee2c13
	s_mov_b32 s24, 0x43842ef
	;; [unrolled: 1-line block ×23, first 2 shown]
	s_waitcnt lgkmcnt(10)
	v_mov_b32_e32 v251, v250
	v_mov_b32_e32 v250, v249
	;; [unrolled: 1-line block ×4, first 2 shown]
	s_waitcnt vmcnt(0)
	v_subrev_u32_e32 v77, 40, v36
	v_cndmask_b32_e64 v76, v77, v76, s[2:3]
	v_mul_hi_i32_i24_e32 v77, 0xa0, v76
	v_mul_i32_i24_e32 v76, 0xa0, v76
	v_add_co_u32_e32 v76, vcc, s4, v76
	v_addc_co_u32_e32 v77, vcc, v78, v77, vcc
	global_load_dwordx4 v[187:190], v[76:77], off offset:1312
	global_load_dwordx4 v[84:87], v[76:77], off offset:1328
	global_load_dwordx4 v[199:202], v[76:77], off offset:1344
	global_load_dwordx4 v[191:194], v[76:77], off offset:1360
	global_load_dwordx4 v[207:210], v[76:77], off offset:1376
	global_load_dwordx4 v[203:206], v[76:77], off offset:1392
	v_mov_b32_e32 v79, s5
	v_mov_b32_e32 v78, s4
	v_mad_u64_u32 v[78:79], s[4:5], v36, s14, v[78:79]
	global_load_dwordx4 v[195:198], v[76:77], off offset:1424
	global_load_dwordx4 v[183:186], v[76:77], off offset:1408
	;; [unrolled: 1-line block ×14, first 2 shown]
	s_mov_b32 s14, 0xf8bb580b
	s_mov_b32 s15, 0xbfe14ced
	;; [unrolled: 1-line block ×5, first 2 shown]
	s_waitcnt vmcnt(11) lgkmcnt(1)
	v_mul_f64 v[116:117], v[34:35], v[179:180]
	v_mul_f64 v[76:77], v[254:255], v[189:190]
	;; [unrolled: 1-line block ×6, first 2 shown]
	s_waitcnt vmcnt(9)
	v_mul_f64 v[40:41], v[74:75], v[38:39]
	v_mul_f64 v[82:83], v[0:1], v[86:87]
	;; [unrolled: 1-line block ×3, first 2 shown]
	v_fma_f64 v[76:77], v[252:253], v[187:188], -v[76:77]
	buffer_store_dword v187, off, s[48:51], 0 offset:896 ; 4-byte Folded Spill
	s_nop 0
	buffer_store_dword v188, off, s[48:51], 0 offset:900 ; 4-byte Folded Spill
	buffer_store_dword v189, off, s[48:51], 0 offset:904 ; 4-byte Folded Spill
	;; [unrolled: 1-line block ×3, first 2 shown]
	v_mul_f64 v[98:99], v[12:13], v[193:194]
	v_mul_f64 v[138:139], v[72:73], v[38:39]
	v_fma_f64 v[80:81], v[0:1], v[84:85], -v[80:81]
	buffer_store_dword v84, off, s[48:51], 0 offset:880 ; 4-byte Folded Spill
	s_nop 0
	buffer_store_dword v85, off, s[48:51], 0 offset:884 ; 4-byte Folded Spill
	buffer_store_dword v86, off, s[48:51], 0 offset:888 ; 4-byte Folded Spill
	;; [unrolled: 1-line block ×3, first 2 shown]
	v_fma_f64 v[252:253], v[4:5], v[199:200], -v[92:93]
	v_fma_f64 v[0:1], v[72:73], v[36:37], -v[40:41]
	buffer_store_dword v36, off, s[48:51], 0 offset:816 ; 4-byte Folded Spill
	s_nop 0
	buffer_store_dword v37, off, s[48:51], 0 offset:820 ; 4-byte Folded Spill
	buffer_store_dword v38, off, s[48:51], 0 offset:824 ; 4-byte Folded Spill
	;; [unrolled: 1-line block ×4, first 2 shown]
	s_nop 0
	buffer_store_dword v200, off, s[48:51], 0 offset:868 ; 4-byte Folded Spill
	buffer_store_dword v201, off, s[48:51], 0 offset:872 ; 4-byte Folded Spill
	;; [unrolled: 1-line block ×3, first 2 shown]
	v_mul_f64 v[100:101], v[18:19], v[209:210]
	s_waitcnt vmcnt(24)
	v_mul_f64 v[140:141], v[70:71], v[245:246]
	v_mul_f64 v[102:103], v[16:17], v[209:210]
	;; [unrolled: 1-line block ×5, first 2 shown]
	s_waitcnt vmcnt(23)
	v_mul_f64 v[144:145], v[66:67], v[241:242]
	v_mul_f64 v[106:107], v[20:21], v[205:206]
	;; [unrolled: 1-line block ×3, first 2 shown]
	v_fma_f64 v[92:93], v[68:69], v[243:244], -v[140:141]
	v_mul_f64 v[146:147], v[64:65], v[241:242]
	v_mul_f64 v[112:113], v[30:31], v[197:198]
	s_waitcnt vmcnt(22)
	v_mul_f64 v[148:149], v[62:63], v[237:238]
	v_mul_f64 v[114:115], v[28:29], v[197:198]
	;; [unrolled: 1-line block ×4, first 2 shown]
	v_fma_f64 v[68:69], v[32:33], v[177:178], -v[116:117]
	s_waitcnt vmcnt(21)
	v_mul_f64 v[152:153], v[52:53], v[233:234]
	v_mul_f64 v[154:155], v[50:51], v[233:234]
	v_add_f64 v[4:5], v[8:9], v[0:1]
	s_waitcnt lgkmcnt(0)
	v_mul_f64 v[132:133], v[136:137], v[213:214]
	v_mul_f64 v[181:182], v[134:135], v[213:214]
	s_waitcnt vmcnt(16)
	v_mul_f64 v[120:121], v[175:176], v[217:218]
	v_mul_f64 v[54:55], v[173:174], v[217:218]
	;; [unrolled: 1-line block ×5, first 2 shown]
	v_add_f64 v[4:5], v[4:5], v[92:93]
	v_mul_f64 v[166:167], v[42:43], v[225:226]
	v_mul_f64 v[156:157], v[58:59], v[90:91]
	;; [unrolled: 1-line block ×5, first 2 shown]
	v_fma_f64 v[78:79], v[254:255], v[187:188], v[78:79]
	v_fma_f64 v[187:188], v[12:13], v[191:192], -v[96:97]
	buffer_store_dword v191, off, s[48:51], 0 offset:928 ; 4-byte Folded Spill
	s_nop 0
	buffer_store_dword v192, off, s[48:51], 0 offset:932 ; 4-byte Folded Spill
	buffer_store_dword v193, off, s[48:51], 0 offset:936 ; 4-byte Folded Spill
	;; [unrolled: 1-line block ×4, first 2 shown]
	s_nop 0
	buffer_store_dword v244, off, s[48:51], 0 offset:800 ; 4-byte Folded Spill
	buffer_store_dword v245, off, s[48:51], 0 offset:804 ; 4-byte Folded Spill
	;; [unrolled: 1-line block ×3, first 2 shown]
	v_fma_f64 v[86:87], v[2:3], v[84:85], v[82:83]
	v_fma_f64 v[82:83], v[20:21], v[203:204], -v[104:105]
	v_fma_f64 v[20:21], v[28:29], v[195:196], -v[112:113]
	v_fma_f64 v[2:3], v[74:75], v[36:37], v[138:139]
	v_fma_f64 v[199:200], v[6:7], v[199:200], v[94:95]
	v_add_f64 v[6:7], v[10:11], v[2:3]
	v_fma_f64 v[189:190], v[14:15], v[191:192], v[98:99]
	v_fma_f64 v[14:15], v[16:17], v[207:208], -v[100:101]
	buffer_store_dword v207, off, s[48:51], 0 offset:992 ; 4-byte Folded Spill
	s_nop 0
	buffer_store_dword v208, off, s[48:51], 0 offset:996 ; 4-byte Folded Spill
	buffer_store_dword v209, off, s[48:51], 0 offset:1000 ; 4-byte Folded Spill
	;; [unrolled: 1-line block ×4, first 2 shown]
	s_nop 0
	buffer_store_dword v204, off, s[48:51], 0 offset:980 ; 4-byte Folded Spill
	buffer_store_dword v205, off, s[48:51], 0 offset:984 ; 4-byte Folded Spill
	;; [unrolled: 1-line block ×3, first 2 shown]
	v_fma_f64 v[94:95], v[70:71], v[243:244], v[142:143]
	v_add_f64 v[12:13], v[6:7], v[94:95]
	v_fma_f64 v[16:17], v[18:19], v[207:208], v[102:103]
	v_fma_f64 v[18:19], v[24:25], v[183:184], -v[108:109]
	v_fma_f64 v[24:25], v[64:65], v[239:240], -v[144:145]
	buffer_store_dword v239, off, s[48:51], 0 offset:780 ; 4-byte Folded Spill
	s_nop 0
	buffer_store_dword v240, off, s[48:51], 0 offset:784 ; 4-byte Folded Spill
	buffer_store_dword v241, off, s[48:51], 0 offset:788 ; 4-byte Folded Spill
	buffer_store_dword v242, off, s[48:51], 0 offset:792 ; 4-byte Folded Spill
	buffer_store_dword v183, off, s[48:51], 0 offset:944 ; 4-byte Folded Spill
	s_nop 0
	buffer_store_dword v184, off, s[48:51], 0 offset:948 ; 4-byte Folded Spill
	buffer_store_dword v185, off, s[48:51], 0 offset:952 ; 4-byte Folded Spill
	buffer_store_dword v186, off, s[48:51], 0 offset:956 ; 4-byte Folded Spill
	;; [unrolled: 5-line block ×3, first 2 shown]
	v_fma_f64 v[22:23], v[22:23], v[203:204], v[106:107]
	v_mov_b32_e32 v204, v211
	v_mov_b32_e32 v205, v212
	;; [unrolled: 1-line block ×24, first 2 shown]
	v_fma_f64 v[90:91], v[58:59], v[224:225], v[158:159]
	v_fma_f64 v[54:55], v[175:176], v[208:209], v[54:55]
	;; [unrolled: 1-line block ×3, first 2 shown]
	v_fma_f64 v[40:41], v[42:43], v[216:217], -v[164:165]
	v_fma_f64 v[42:43], v[44:45], v[216:217], v[166:167]
	v_fma_f64 v[38:39], v[171:172], v[212:213], v[128:129]
	v_fma_f64 v[242:243], v[134:135], v[204:205], -v[132:133]
	v_fma_f64 v[36:37], v[169:170], v[212:213], -v[122:123]
	v_fma_f64 v[70:71], v[136:137], v[204:205], v[181:182]
	v_add_f64 v[58:59], v[2:3], -v[54:55]
	v_add_f64 v[132:133], v[94:95], -v[38:39]
	;; [unrolled: 1-line block ×3, first 2 shown]
	v_mul_f64 v[96:97], v[58:59], s[26:27]
	v_mul_f64 v[100:101], v[58:59], s[24:25]
	;; [unrolled: 1-line block ×5, first 2 shown]
	v_fma_f64 v[64:65], v[66:67], v[239:240], v[146:147]
	v_fma_f64 v[84:85], v[26:27], v[183:184], v[110:111]
	v_fma_f64 v[26:27], v[60:61], v[235:236], -v[148:149]
	buffer_store_dword v235, off, s[48:51], 0 offset:764 ; 4-byte Folded Spill
	s_nop 0
	buffer_store_dword v236, off, s[48:51], 0 offset:768 ; 4-byte Folded Spill
	buffer_store_dword v237, off, s[48:51], 0 offset:772 ; 4-byte Folded Spill
	;; [unrolled: 1-line block ×4, first 2 shown]
	s_nop 0
	buffer_store_dword v178, off, s[48:51], 0 offset:964 ; 4-byte Folded Spill
	buffer_store_dword v179, off, s[48:51], 0 offset:968 ; 4-byte Folded Spill
	;; [unrolled: 1-line block ×3, first 2 shown]
	v_mov_b32_e32 v241, v81
	v_mov_b32_e32 v240, v80
	v_fma_f64 v[80:81], v[30:31], v[195:196], v[114:115]
	v_add_f64 v[30:31], v[4:5], v[24:25]
	v_add_f64 v[32:33], v[12:13], v[64:65]
	v_fma_f64 v[12:13], v[56:57], v[224:225], -v[156:157]
	v_fma_f64 v[4:5], v[46:47], v[220:221], -v[160:161]
	v_add_f64 v[30:31], v[30:31], v[26:27]
	v_fma_f64 v[28:29], v[62:63], v[235:236], v[150:151]
	v_fma_f64 v[72:73], v[34:35], v[177:178], v[118:119]
	v_fma_f64 v[34:35], v[50:51], v[231:232], -v[152:153]
	buffer_store_dword v231, off, s[48:51], 0 offset:748 ; 4-byte Folded Spill
	s_nop 0
	buffer_store_dword v232, off, s[48:51], 0 offset:752 ; 4-byte Folded Spill
	buffer_store_dword v233, off, s[48:51], 0 offset:756 ; 4-byte Folded Spill
	;; [unrolled: 1-line block ×3, first 2 shown]
	v_mov_b32_e32 v236, v252
	v_mov_b32_e32 v237, v253
	v_add_f64 v[32:33], v[32:33], v[28:29]
	v_add_f64 v[30:31], v[30:31], v[34:35]
	v_fma_f64 v[88:89], v[52:53], v[231:232], v[154:155]
	v_fma_f64 v[52:53], v[173:174], v[208:209], -v[120:121]
	v_add_f64 v[32:33], v[32:33], v[88:89]
	v_add_f64 v[60:61], v[0:1], -v[52:53]
	v_add_f64 v[62:63], v[0:1], v[52:53]
	v_add_f64 v[0:1], v[30:31], v[12:13]
	;; [unrolled: 1-line block ×5, first 2 shown]
	v_mul_f64 v[2:3], v[58:59], s[14:15]
	v_add_f64 v[0:1], v[0:1], v[4:5]
	v_mul_f64 v[66:67], v[60:61], s[14:15]
	v_mul_f64 v[98:99], v[60:61], s[26:27]
	;; [unrolled: 1-line block ×4, first 2 shown]
	v_add_f64 v[30:31], v[30:31], v[6:7]
	v_mul_f64 v[60:61], v[60:61], s[34:35]
	v_fma_f64 v[108:109], v[62:63], s[4:5], -v[2:3]
	v_add_f64 v[0:1], v[0:1], v[40:41]
	v_fma_f64 v[2:3], v[62:63], s[4:5], v[2:3]
	v_fma_f64 v[110:111], v[32:33], s[4:5], v[66:67]
	v_fma_f64 v[66:67], v[32:33], s[4:5], -v[66:67]
	v_fma_f64 v[112:113], v[62:63], s[18:19], -v[96:97]
	v_add_f64 v[30:31], v[30:31], v[42:43]
	v_fma_f64 v[114:115], v[32:33], s[18:19], v[98:99]
	v_fma_f64 v[98:99], v[32:33], s[18:19], -v[98:99]
	v_add_f64 v[0:1], v[0:1], v[36:37]
	v_add_f64 v[36:37], v[92:93], v[36:37]
	v_mul_f64 v[92:93], v[132:133], s[26:27]
	v_add_f64 v[108:109], v[8:9], v[108:109]
	v_add_f64 v[118:119], v[8:9], v[2:3]
	;; [unrolled: 1-line block ×3, first 2 shown]
	v_mul_f64 v[58:59], v[58:59], s[34:35]
	v_fma_f64 v[138:139], v[32:33], s[30:31], v[60:61]
	v_add_f64 v[38:39], v[94:95], v[38:39]
	v_mul_f64 v[94:95], v[134:135], s[26:27]
	v_fma_f64 v[96:97], v[62:63], s[18:19], v[96:97]
	v_fma_f64 v[116:117], v[62:63], s[20:21], -v[100:101]
	v_add_f64 v[110:111], v[10:11], v[110:111]
	v_add_f64 v[2:3], v[30:31], v[54:55]
	v_fma_f64 v[30:31], v[32:33], s[20:21], v[102:103]
	v_fma_f64 v[54:55], v[32:33], s[20:21], -v[102:103]
	v_fma_f64 v[102:103], v[32:33], s[28:29], v[106:107]
	v_fma_f64 v[106:107], v[32:33], s[28:29], -v[106:107]
	v_fma_f64 v[32:33], v[32:33], s[30:31], -v[60:61]
	;; [unrolled: 1-line block ×3, first 2 shown]
	v_add_f64 v[66:67], v[10:11], v[66:67]
	v_add_f64 v[112:113], v[8:9], v[112:113]
	;; [unrolled: 1-line block ×4, first 2 shown]
	v_fma_f64 v[52:53], v[62:63], s[20:21], v[100:101]
	v_fma_f64 v[100:101], v[62:63], s[28:29], -v[104:105]
	v_add_f64 v[98:99], v[10:11], v[98:99]
	v_add_f64 v[30:31], v[10:11], v[30:31]
	;; [unrolled: 1-line block ×4, first 2 shown]
	v_fma_f64 v[104:105], v[62:63], s[28:29], v[104:105]
	v_fma_f64 v[136:137], v[62:63], s[30:31], -v[58:59]
	v_add_f64 v[106:107], v[10:11], v[106:107]
	v_add_f64 v[138:139], v[10:11], v[138:139]
	v_fma_f64 v[58:59], v[62:63], s[30:31], v[58:59]
	v_fma_f64 v[62:63], v[38:39], s[18:19], v[94:95]
	;; [unrolled: 1-line block ×3, first 2 shown]
	v_fma_f64 v[94:95], v[38:39], s[18:19], -v[94:95]
	v_fma_f64 v[144:145], v[36:37], s[28:29], -v[140:141]
	v_add_f64 v[10:11], v[10:11], v[32:33]
	v_add_f64 v[32:33], v[60:61], v[108:109]
	v_mul_f64 v[108:109], v[134:135], s[36:37]
	v_add_f64 v[96:97], v[8:9], v[96:97]
	v_add_f64 v[116:117], v[8:9], v[116:117]
	;; [unrolled: 1-line block ×6, first 2 shown]
	v_fma_f64 v[146:147], v[38:39], s[28:29], v[142:143]
	v_add_f64 v[8:9], v[8:9], v[58:59]
	v_add_f64 v[58:59], v[62:63], v[110:111]
	;; [unrolled: 1-line block ×5, first 2 shown]
	v_mul_f64 v[94:95], v[132:133], s[36:37]
	v_mul_f64 v[110:111], v[132:133], s[40:41]
	;; [unrolled: 1-line block ×3, first 2 shown]
	v_fma_f64 v[118:119], v[38:39], s[28:29], -v[142:143]
	v_fma_f64 v[142:143], v[38:39], s[30:31], v[108:109]
	v_fma_f64 v[108:109], v[38:39], s[30:31], -v[108:109]
	v_add_f64 v[92:93], v[146:147], v[114:115]
	v_fma_f64 v[114:115], v[36:37], s[28:29], v[140:141]
	v_fma_f64 v[140:141], v[36:37], s[30:31], -v[94:95]
	v_fma_f64 v[94:95], v[36:37], s[30:31], v[94:95]
	v_fma_f64 v[144:145], v[36:37], s[20:21], -v[110:111]
	v_fma_f64 v[146:147], v[38:39], s[20:21], v[112:113]
	v_add_f64 v[98:99], v[118:119], v[98:99]
	v_add_f64 v[54:55], v[108:109], v[54:55]
	v_add_f64 v[108:109], v[24:25], -v[40:41]
	v_mul_f64 v[118:119], v[134:135], s[42:43]
	v_add_f64 v[96:97], v[114:115], v[96:97]
	v_add_f64 v[114:115], v[140:141], v[116:117]
	;; [unrolled: 1-line block ×5, first 2 shown]
	v_add_f64 v[102:103], v[64:65], -v[42:43]
	v_mul_f64 v[116:117], v[132:133], s[42:43]
	v_fma_f64 v[112:113], v[38:39], s[20:21], -v[112:113]
	v_add_f64 v[24:25], v[24:25], v[40:41]
	v_add_f64 v[40:41], v[64:65], v[42:43]
	v_mul_f64 v[64:65], v[108:109], s[24:25]
	v_fma_f64 v[134:135], v[38:39], s[4:5], v[118:119]
	v_fma_f64 v[110:111], v[36:37], s[20:21], v[110:111]
	v_mul_f64 v[42:43], v[102:103], s[24:25]
	v_fma_f64 v[132:133], v[36:37], s[4:5], -v[116:117]
	v_add_f64 v[106:107], v[112:113], v[106:107]
	v_fma_f64 v[36:37], v[36:37], s[4:5], v[116:117]
	v_fma_f64 v[38:39], v[38:39], s[4:5], -v[118:119]
	v_fma_f64 v[112:113], v[40:41], s[20:21], v[64:65]
	v_add_f64 v[118:119], v[134:135], v[138:139]
	v_mul_f64 v[134:135], v[108:109], s[36:37]
	v_add_f64 v[104:105], v[110:111], v[104:105]
	v_fma_f64 v[110:111], v[24:25], s[20:21], -v[42:43]
	v_add_f64 v[116:117], v[132:133], v[136:137]
	v_mul_f64 v[132:133], v[102:103], s[36:37]
	v_add_f64 v[8:9], v[36:37], v[8:9]
	v_add_f64 v[10:11], v[38:39], v[10:11]
	;; [unrolled: 1-line block ×3, first 2 shown]
	v_fma_f64 v[38:39], v[24:25], s[20:21], v[42:43]
	v_fma_f64 v[42:43], v[40:41], s[20:21], -v[64:65]
	v_fma_f64 v[64:65], v[40:41], s[30:31], v[134:135]
	v_mul_f64 v[112:113], v[108:109], s[38:39]
	v_add_f64 v[30:31], v[142:143], v[30:31]
	v_fma_f64 v[58:59], v[24:25], s[30:31], -v[132:133]
	v_add_f64 v[32:33], v[110:111], v[32:33]
	v_mul_f64 v[110:111], v[102:103], s[38:39]
	v_add_f64 v[38:39], v[38:39], v[60:61]
	v_add_f64 v[42:43], v[42:43], v[62:63]
	v_add_f64 v[60:61], v[64:65], v[92:93]
	v_fma_f64 v[62:63], v[24:25], s[30:31], v[132:133]
	v_fma_f64 v[64:65], v[40:41], s[30:31], -v[134:135]
	v_fma_f64 v[92:93], v[40:41], s[18:19], v[112:113]
	v_mul_f64 v[132:133], v[102:103], s[14:15]
	v_mul_f64 v[134:135], v[108:109], s[14:15]
	;; [unrolled: 1-line block ×3, first 2 shown]
	v_add_f64 v[58:59], v[58:59], v[66:67]
	v_fma_f64 v[66:67], v[24:25], s[18:19], -v[110:111]
	v_add_f64 v[62:63], v[62:63], v[96:97]
	v_add_f64 v[64:65], v[64:65], v[98:99]
	;; [unrolled: 1-line block ×3, first 2 shown]
	v_fma_f64 v[92:93], v[24:25], s[4:5], -v[132:133]
	v_fma_f64 v[96:97], v[40:41], s[4:5], v[134:135]
	v_mul_f64 v[98:99], v[102:103], s[22:23]
	v_fma_f64 v[102:103], v[24:25], s[4:5], v[132:133]
	v_fma_f64 v[110:111], v[24:25], s[18:19], v[110:111]
	v_fma_f64 v[112:113], v[40:41], s[18:19], -v[112:113]
	v_add_f64 v[66:67], v[66:67], v[114:115]
	v_add_f64 v[132:133], v[189:190], v[84:85]
	;; [unrolled: 1-line block ×4, first 2 shown]
	v_add_f64 v[96:97], v[28:29], -v[6:7]
	v_add_f64 v[100:101], v[26:27], -v[4:5]
	v_add_f64 v[102:103], v[102:103], v[104:105]
	v_fma_f64 v[104:105], v[40:41], s[28:29], v[108:109]
	v_add_f64 v[52:53], v[110:111], v[52:53]
	v_add_f64 v[54:55], v[112:113], v[54:55]
	v_fma_f64 v[110:111], v[40:41], s[4:5], -v[134:135]
	v_fma_f64 v[112:113], v[24:25], s[28:29], -v[98:99]
	v_add_f64 v[26:27], v[26:27], v[4:5]
	v_add_f64 v[28:29], v[28:29], v[6:7]
	v_mul_f64 v[44:45], v[96:97], s[22:23]
	v_mul_f64 v[46:47], v[100:101], s[22:23]
	v_fma_f64 v[24:25], v[24:25], s[28:29], v[98:99]
	v_add_f64 v[98:99], v[104:105], v[118:119]
	v_fma_f64 v[40:41], v[40:41], s[28:29], -v[108:109]
	v_mul_f64 v[104:105], v[96:97], s[40:41]
	v_mul_f64 v[108:109], v[100:101], s[40:41]
	v_add_f64 v[106:107], v[110:111], v[106:107]
	v_add_f64 v[110:111], v[112:113], v[116:117]
	v_fma_f64 v[112:113], v[26:27], s[28:29], -v[44:45]
	v_fma_f64 v[114:115], v[28:29], s[28:29], v[46:47]
	v_fma_f64 v[44:45], v[26:27], s[28:29], v[44:45]
	v_add_f64 v[8:9], v[24:25], v[8:9]
	v_fma_f64 v[24:25], v[28:29], s[28:29], -v[46:47]
	v_add_f64 v[10:11], v[40:41], v[10:11]
	v_fma_f64 v[40:41], v[26:27], s[20:21], -v[104:105]
	v_fma_f64 v[46:47], v[28:29], s[20:21], v[108:109]
	v_add_f64 v[32:33], v[112:113], v[32:33]
	v_add_f64 v[36:37], v[114:115], v[36:37]
	;; [unrolled: 1-line block ×3, first 2 shown]
	v_mul_f64 v[44:45], v[96:97], s[14:15]
	v_add_f64 v[24:25], v[24:25], v[42:43]
	v_mul_f64 v[42:43], v[100:101], s[14:15]
	v_add_f64 v[40:41], v[40:41], v[58:59]
	v_add_f64 v[46:47], v[46:47], v[60:61]
	v_fma_f64 v[58:59], v[26:27], s[20:21], v[104:105]
	v_mul_f64 v[60:61], v[96:97], s[34:35]
	v_fma_f64 v[104:105], v[28:29], s[20:21], -v[108:109]
	v_fma_f64 v[108:109], v[26:27], s[4:5], -v[44:45]
	v_fma_f64 v[44:45], v[26:27], s[4:5], v[44:45]
	v_fma_f64 v[114:115], v[28:29], s[4:5], v[42:43]
	v_fma_f64 v[42:43], v[28:29], s[4:5], -v[42:43]
	v_mul_f64 v[112:113], v[100:101], s[34:35]
	v_add_f64 v[58:59], v[58:59], v[62:63]
	v_fma_f64 v[62:63], v[26:27], s[30:31], -v[60:61]
	v_add_f64 v[64:65], v[104:105], v[64:65]
	v_fma_f64 v[60:61], v[26:27], s[30:31], v[60:61]
	v_add_f64 v[44:45], v[44:45], v[52:53]
	v_mul_f64 v[52:53], v[96:97], s[38:39]
	v_add_f64 v[42:43], v[42:43], v[54:55]
	v_add_f64 v[96:97], v[34:35], -v[12:13]
	v_fma_f64 v[104:105], v[28:29], s[30:31], v[112:113]
	v_add_f64 v[54:55], v[62:63], v[92:93]
	v_add_f64 v[62:63], v[88:89], -v[90:91]
	v_mul_f64 v[92:93], v[100:101], s[38:39]
	v_add_f64 v[34:35], v[34:35], v[12:13]
	v_add_f64 v[66:67], v[108:109], v[66:67]
	v_fma_f64 v[100:101], v[28:29], s[30:31], -v[112:113]
	v_mul_f64 v[50:51], v[96:97], s[34:35]
	v_add_f64 v[94:95], v[104:105], v[94:95]
	v_fma_f64 v[104:105], v[26:27], s[18:19], -v[52:53]
	v_mul_f64 v[48:49], v[62:63], s[34:35]
	v_fma_f64 v[108:109], v[28:29], s[18:19], v[92:93]
	v_fma_f64 v[26:27], v[26:27], s[18:19], v[52:53]
	v_fma_f64 v[28:29], v[28:29], s[18:19], -v[92:93]
	v_add_f64 v[52:53], v[60:61], v[102:103]
	v_fma_f64 v[102:103], v[56:57], s[30:31], v[50:51]
	v_add_f64 v[60:61], v[100:101], v[106:107]
	v_add_f64 v[100:101], v[104:105], v[110:111]
	v_fma_f64 v[92:93], v[34:35], s[30:31], -v[48:49]
	v_add_f64 v[30:31], v[114:115], v[30:31]
	v_add_f64 v[104:105], v[26:27], v[8:9]
	;; [unrolled: 1-line block ×3, first 2 shown]
	v_mul_f64 v[8:9], v[62:63], s[42:43]
	v_mul_f64 v[10:11], v[96:97], s[42:43]
	v_fma_f64 v[26:27], v[34:35], s[30:31], v[48:49]
	v_add_f64 v[142:143], v[102:103], v[36:37]
	v_add_f64 v[140:141], v[92:93], v[32:33]
	v_fma_f64 v[32:33], v[56:57], s[30:31], -v[50:51]
	v_mul_f64 v[36:37], v[62:63], s[22:23]
	v_mul_f64 v[48:49], v[96:97], s[22:23]
	v_fma_f64 v[50:51], v[34:35], s[4:5], -v[8:9]
	v_fma_f64 v[92:93], v[56:57], s[4:5], v[10:11]
	v_fma_f64 v[8:9], v[34:35], s[4:5], v[8:9]
	v_add_f64 v[144:145], v[26:27], v[38:39]
	v_fma_f64 v[10:11], v[56:57], s[4:5], -v[10:11]
	v_add_f64 v[146:147], v[32:33], v[24:25]
	v_fma_f64 v[24:25], v[34:35], s[28:29], -v[36:37]
	v_fma_f64 v[26:27], v[56:57], s[28:29], v[48:49]
	v_mul_f64 v[32:33], v[96:97], s[38:39]
	v_mul_f64 v[38:39], v[96:97], s[24:25]
	v_add_f64 v[152:153], v[8:9], v[58:59]
	v_mul_f64 v[8:9], v[62:63], s[38:39]
	v_add_f64 v[154:155], v[10:11], v[64:65]
	v_fma_f64 v[10:11], v[34:35], s[28:29], v[36:37]
	v_add_f64 v[156:157], v[24:25], v[66:67]
	v_add_f64 v[158:159], v[26:27], v[30:31]
	v_fma_f64 v[24:25], v[56:57], s[28:29], -v[48:49]
	v_mul_f64 v[26:27], v[62:63], s[24:25]
	v_add_f64 v[98:99], v[108:109], v[98:99]
	v_add_f64 v[148:149], v[50:51], v[40:41]
	;; [unrolled: 1-line block ×3, first 2 shown]
	v_fma_f64 v[30:31], v[34:35], s[18:19], -v[8:9]
	v_fma_f64 v[36:37], v[56:57], s[18:19], v[32:33]
	v_fma_f64 v[8:9], v[34:35], s[18:19], v[8:9]
	v_fma_f64 v[32:33], v[56:57], s[18:19], -v[32:33]
	v_add_f64 v[160:161], v[10:11], v[44:45]
	v_add_f64 v[162:163], v[24:25], v[42:43]
	v_fma_f64 v[10:11], v[34:35], s[20:21], -v[26:27]
	v_fma_f64 v[24:25], v[56:57], s[20:21], v[38:39]
	v_add_f64 v[92:93], v[78:79], -v[70:71]
	v_add_f64 v[50:51], v[76:77], -v[242:243]
	v_add_f64 v[164:165], v[30:31], v[54:55]
	v_add_f64 v[136:137], v[8:9], v[52:53]
	;; [unrolled: 1-line block ×3, first 2 shown]
	v_fma_f64 v[30:31], v[34:35], s[20:21], v[26:27]
	v_add_f64 v[169:170], v[10:11], v[100:101]
	v_fma_f64 v[32:33], v[56:57], s[20:21], -v[38:39]
	v_add_f64 v[171:172], v[24:25], v[98:99]
	v_add_f64 v[26:27], v[76:77], v[242:243]
	;; [unrolled: 1-line block ×3, first 2 shown]
	v_mul_f64 v[8:9], v[92:93], s[14:15]
	v_mul_f64 v[24:25], v[50:51], s[14:15]
	;; [unrolled: 1-line block ×3, first 2 shown]
	v_add_f64 v[100:101], v[86:87], -v[72:73]
	v_add_f64 v[64:65], v[240:241], -v[68:69]
	v_add_f64 v[166:167], v[36:37], v[94:95]
	v_add_f64 v[173:174], v[30:31], v[104:105]
	;; [unrolled: 1-line block ×3, first 2 shown]
	v_mul_f64 v[56:57], v[50:51], s[26:27]
	v_fma_f64 v[34:35], v[26:27], s[4:5], v[8:9]
	v_fma_f64 v[36:37], v[102:103], s[4:5], -v[24:25]
	v_fma_f64 v[38:39], v[26:27], s[18:19], v[10:11]
	v_add_f64 v[32:33], v[240:241], v[68:69]
	v_add_f64 v[112:113], v[86:87], v[72:73]
	v_mul_f64 v[28:29], v[100:101], s[26:27]
	v_mul_f64 v[30:31], v[64:65], s[26:27]
	v_add_f64 v[110:111], v[199:200], -v[80:81]
	v_add_f64 v[46:47], v[236:237], -v[20:21]
	v_fma_f64 v[40:41], v[102:103], s[18:19], -v[56:57]
	v_add_f64 v[44:45], v[248:249], v[34:35]
	v_add_f64 v[48:49], v[250:251], v[36:37]
	;; [unrolled: 1-line block ×3, first 2 shown]
	v_fma_f64 v[54:55], v[32:33], s[18:19], v[28:29]
	v_fma_f64 v[58:59], v[112:113], s[18:19], -v[30:31]
	v_mul_f64 v[38:39], v[100:101], s[22:23]
	v_add_f64 v[42:43], v[236:237], v[20:21]
	v_add_f64 v[114:115], v[199:200], v[80:81]
	v_mul_f64 v[34:35], v[110:111], s[24:25]
	v_mul_f64 v[36:37], v[46:47], s[24:25]
	v_add_f64 v[116:117], v[189:190], -v[84:85]
	v_add_f64 v[62:63], v[250:251], v[40:41]
	v_add_f64 v[66:67], v[54:55], v[44:45]
	;; [unrolled: 1-line block ×3, first 2 shown]
	v_add_f64 v[58:59], v[187:188], -v[18:19]
	v_fma_f64 v[94:95], v[32:33], s[28:29], v[38:39]
	v_mul_f64 v[60:61], v[64:65], s[22:23]
	v_fma_f64 v[96:97], v[42:43], s[20:21], v[34:35]
	v_fma_f64 v[98:99], v[114:115], s[20:21], -v[36:37]
	v_add_f64 v[54:55], v[187:188], v[18:19]
	v_mul_f64 v[40:41], v[116:117], s[22:23]
	v_add_f64 v[118:119], v[16:17], -v[22:23]
	v_mul_f64 v[44:45], v[58:59], s[22:23]
	v_add_f64 v[106:107], v[94:95], v[52:53]
	v_fma_f64 v[104:105], v[112:113], s[28:29], -v[60:61]
	v_add_f64 v[94:95], v[14:15], -v[82:83]
	v_add_f64 v[96:97], v[96:97], v[66:67]
	v_add_f64 v[98:99], v[98:99], v[48:49]
	v_fma_f64 v[108:109], v[54:55], s[28:29], v[40:41]
	v_add_f64 v[66:67], v[14:15], v[82:83]
	v_mul_f64 v[48:49], v[118:119], s[34:35]
	v_fma_f64 v[244:245], v[132:133], s[28:29], -v[44:45]
	v_add_f64 v[134:135], v[16:17], v[22:23]
	v_mul_f64 v[52:53], v[94:95], s[34:35]
	v_add_f64 v[252:253], v[104:105], v[62:63]
	v_mul_f64 v[62:63], v[110:111], s[36:37]
	v_add_f64 v[96:97], v[108:109], v[96:97]
	ds_write_b128 v168, v[0:3]
	ds_write_b128 v168, v[140:143] offset:1344
	ds_write_b128 v168, v[148:151] offset:2688
	;; [unrolled: 1-line block ×10, first 2 shown]
	v_fma_f64 v[104:105], v[66:67], s[30:31], v[48:49]
	v_add_f64 v[98:99], v[244:245], v[98:99]
	v_fma_f64 v[108:109], v[134:135], s[30:31], -v[52:53]
	v_add_f64 v[244:245], v[104:105], v[96:97]
	v_mul_f64 v[104:105], v[46:47], s[36:37]
	v_fma_f64 v[96:97], v[42:43], s[30:31], v[62:63]
	v_add_f64 v[246:247], v[108:109], v[98:99]
	v_fma_f64 v[98:99], v[114:115], s[30:31], -v[104:105]
	v_add_f64 v[96:97], v[96:97], v[106:107]
	v_add_f64 v[108:109], v[98:99], v[252:253]
	v_mul_f64 v[98:99], v[116:117], s[40:41]
	v_fma_f64 v[106:107], v[54:55], s[20:21], v[98:99]
	v_add_f64 v[252:253], v[106:107], v[96:97]
	v_mul_f64 v[106:107], v[58:59], s[40:41]
	v_fma_f64 v[96:97], v[132:133], s[20:21], -v[106:107]
	v_add_f64 v[254:255], v[96:97], v[108:109]
	v_mul_f64 v[96:97], v[118:119], s[42:43]
	v_fma_f64 v[108:109], v[66:67], s[4:5], v[96:97]
	v_add_f64 v[252:253], v[108:109], v[252:253]
	v_mul_f64 v[108:109], v[94:95], s[42:43]
	v_fma_f64 v[177:178], v[134:135], s[4:5], -v[108:109]
	v_add_f64 v[254:255], v[177:178], v[254:255]
	s_and_saveexec_b64 s[44:45], s[2:3]
	s_cbranch_execz .LBB0_15
; %bb.14:
	v_mul_f64 v[0:1], v[102:103], s[30:31]
	v_mul_f64 v[2:3], v[92:93], s[34:35]
	;; [unrolled: 1-line block ×4, first 2 shown]
	v_mov_b32_e32 v231, v188
	v_mov_b32_e32 v235, v190
	v_mul_f64 v[182:183], v[114:115], s[28:29]
	v_mov_b32_e32 v230, v187
	v_fma_f64 v[138:139], v[50:51], s[36:37], v[0:1]
	v_fma_f64 v[177:178], v[26:27], s[30:31], v[2:3]
	;; [unrolled: 1-line block ×3, first 2 shown]
	v_mul_f64 v[186:187], v[110:111], s[22:23]
	v_mov_b32_e32 v234, v189
	v_fma_f64 v[188:189], v[32:33], s[4:5], v[142:143]
	s_mov_b32 s47, 0x3fe82f19
	s_mov_b32 s46, s22
	v_add_f64 v[138:139], v[250:251], v[138:139]
	v_add_f64 v[177:178], v[248:249], v[177:178]
	v_mul_f64 v[179:180], v[132:133], s[18:19]
	v_fma_f64 v[190:191], v[46:47], s[46:47], v[182:183]
	v_fma_f64 v[0:1], v[50:51], s[34:35], v[0:1]
	;; [unrolled: 1-line block ×4, first 2 shown]
	v_mov_b32_e32 v239, v200
	v_add_f64 v[138:139], v[184:185], v[138:139]
	v_mul_f64 v[184:185], v[116:117], s[38:39]
	v_add_f64 v[177:178], v[188:189], v[177:178]
	v_mul_f64 v[188:189], v[134:135], s[20:21]
	v_fma_f64 v[194:195], v[58:59], s[26:27], v[179:180]
	v_add_f64 v[0:1], v[250:251], v[0:1]
	v_mov_b32_e32 v238, v199
	v_fma_f64 v[182:183], v[46:47], s[22:23], v[182:183]
	v_add_f64 v[138:139], v[190:191], v[138:139]
	v_mul_f64 v[190:191], v[118:119], s[24:25]
	v_fma_f64 v[196:197], v[54:55], s[18:19], v[184:185]
	v_add_f64 v[177:178], v[192:193], v[177:178]
	v_fma_f64 v[198:199], v[94:95], s[40:41], v[188:189]
	v_add_f64 v[0:1], v[136:137], v[0:1]
	v_fma_f64 v[2:3], v[26:27], s[30:31], -v[2:3]
	v_fma_f64 v[179:180], v[58:59], s[38:39], v[179:180]
	v_add_f64 v[136:137], v[194:195], v[138:139]
	v_fma_f64 v[138:139], v[66:67], s[20:21], v[190:191]
	v_fma_f64 v[142:143], v[32:33], s[4:5], -v[142:143]
	v_add_f64 v[177:178], v[196:197], v[177:178]
	v_mul_f64 v[196:197], v[102:103], s[28:29]
	v_add_f64 v[182:183], v[182:183], v[0:1]
	v_add_f64 v[200:201], v[248:249], v[2:3]
	v_mul_f64 v[202:203], v[100:101], s[40:41]
	v_add_f64 v[2:3], v[198:199], v[136:137]
	v_mul_f64 v[136:137], v[112:113], s[20:21]
	v_mul_f64 v[198:199], v[92:93], s[22:23]
	v_add_f64 v[0:1], v[138:139], v[177:178]
	v_fma_f64 v[177:178], v[50:51], s[46:47], v[196:197]
	v_fma_f64 v[138:139], v[94:95], s[24:25], v[188:189]
	v_add_f64 v[179:180], v[179:180], v[182:183]
	v_fma_f64 v[182:183], v[42:43], s[28:29], -v[186:187]
	v_add_f64 v[142:143], v[142:143], v[200:201]
	v_fma_f64 v[186:187], v[66:67], s[20:21], -v[190:191]
	v_mul_f64 v[188:189], v[114:115], s[4:5]
	v_fma_f64 v[190:191], v[64:65], s[24:25], v[136:137]
	v_add_f64 v[177:178], v[250:251], v[177:178]
	v_mul_f64 v[200:201], v[132:133], s[30:31]
	v_fma_f64 v[4:5], v[26:27], s[28:29], v[198:199]
	v_mov_b32_e32 v229, v15
	v_add_f64 v[142:143], v[182:183], v[142:143]
	v_fma_f64 v[182:183], v[50:51], s[22:23], v[196:197]
	v_fma_f64 v[196:197], v[46:47], s[42:43], v[188:189]
	v_fma_f64 v[184:185], v[54:55], s[18:19], -v[184:185]
	v_add_f64 v[177:178], v[190:191], v[177:178]
	v_mul_f64 v[190:191], v[134:135], s[18:19]
	v_fma_f64 v[6:7], v[58:59], s[36:37], v[200:201]
	v_fma_f64 v[136:137], v[64:65], s[40:41], v[136:137]
	v_mul_f64 v[12:13], v[110:111], s[14:15]
	v_add_f64 v[182:183], v[250:251], v[182:183]
	v_mov_b32_e32 v228, v14
	v_fma_f64 v[14:15], v[32:33], s[20:21], v[202:203]
	v_add_f64 v[4:5], v[248:249], v[4:5]
	v_add_f64 v[177:178], v[196:197], v[177:178]
	v_mov_b32_e32 v233, v17
	v_add_f64 v[142:143], v[184:185], v[142:143]
	v_fma_f64 v[184:185], v[94:95], s[26:27], v[190:191]
	v_fma_f64 v[188:189], v[46:47], s[14:15], v[188:189]
	v_add_f64 v[182:183], v[136:137], v[182:183]
	v_mul_f64 v[196:197], v[116:117], s[34:35]
	v_mov_b32_e32 v232, v16
	v_fma_f64 v[16:17], v[42:43], s[4:5], v[12:13]
	v_add_f64 v[4:5], v[14:15], v[4:5]
	v_add_f64 v[6:7], v[6:7], v[177:178]
	;; [unrolled: 1-line block ×3, first 2 shown]
	v_fma_f64 v[14:15], v[58:59], s[34:35], v[200:201]
	v_add_f64 v[177:178], v[188:189], v[182:183]
	v_fma_f64 v[182:183], v[54:55], s[30:31], v[196:197]
	v_mul_f64 v[145:146], v[102:103], s[4:5]
	v_mul_f64 v[148:149], v[102:103], s[18:19]
	v_add_f64 v[4:5], v[16:17], v[4:5]
	v_add_f64 v[142:143], v[184:185], v[6:7]
	v_mul_f64 v[6:7], v[102:103], s[20:21]
	v_mul_f64 v[152:153], v[112:113], s[18:19]
	;; [unrolled: 1-line block ×3, first 2 shown]
	v_fma_f64 v[16:17], v[94:95], s[38:39], v[190:191]
	v_fma_f64 v[102:103], v[26:27], s[28:29], -v[198:199]
	v_add_f64 v[14:15], v[14:15], v[177:178]
	v_mul_f64 v[112:113], v[112:113], s[30:31]
	v_add_f64 v[182:183], v[182:183], v[4:5]
	v_mul_f64 v[4:5], v[92:93], s[24:25]
	v_fma_f64 v[184:185], v[50:51], s[40:41], v[6:7]
	v_mul_f64 v[120:121], v[114:115], s[20:21]
	v_mul_f64 v[164:165], v[114:115], s[30:31]
	v_fma_f64 v[186:187], v[32:33], s[20:21], -v[202:203]
	v_add_f64 v[102:103], v[248:249], v[102:103]
	v_add_f64 v[92:93], v[16:17], v[14:15]
	v_mul_f64 v[14:15], v[114:115], s[18:19]
	v_fma_f64 v[16:17], v[64:65], s[34:35], v[112:113]
	v_mul_f64 v[100:101], v[100:101], s[36:37]
	v_fma_f64 v[114:115], v[26:27], s[20:21], v[4:5]
	v_add_f64 v[184:185], v[250:251], v[184:185]
	v_mul_f64 v[169:170], v[132:133], s[28:29]
	v_mul_f64 v[173:174], v[132:133], s[20:21]
	v_fma_f64 v[12:13], v[42:43], s[4:5], -v[12:13]
	v_add_f64 v[102:103], v[186:187], v[102:103]
	v_mul_f64 v[132:133], v[132:133], s[4:5]
	v_fma_f64 v[186:187], v[46:47], s[26:27], v[14:15]
	v_mul_f64 v[110:111], v[110:111], s[38:39]
	v_fma_f64 v[188:189], v[32:33], s[30:31], v[100:101]
	v_add_f64 v[114:115], v[248:249], v[114:115]
	v_add_f64 v[16:17], v[16:17], v[184:185]
	v_mul_f64 v[140:141], v[134:135], s[30:31]
	v_mul_f64 v[194:195], v[134:135], s[4:5]
	v_fma_f64 v[184:185], v[54:55], s[30:31], -v[196:197]
	v_add_f64 v[12:13], v[12:13], v[102:103]
	v_mul_f64 v[102:103], v[134:135], s[28:29]
	v_fma_f64 v[134:135], v[58:59], s[42:43], v[132:133]
	v_mul_f64 v[116:117], v[116:117], s[14:15]
	v_fma_f64 v[190:191], v[42:43], s[18:19], v[110:111]
	v_add_f64 v[114:115], v[188:189], v[114:115]
	v_add_f64 v[16:17], v[186:187], v[16:17]
	v_fma_f64 v[6:7], v[50:51], s[24:25], v[6:7]
	v_add_f64 v[138:139], v[138:139], v[179:180]
	v_mul_f64 v[179:180], v[118:119], s[38:39]
	v_mul_f64 v[50:51], v[118:119], s[22:23]
	v_add_f64 v[118:119], v[184:185], v[12:13]
	v_fma_f64 v[12:13], v[54:55], s[4:5], v[116:117]
	v_add_f64 v[114:115], v[190:191], v[114:115]
	v_add_f64 v[134:135], v[134:135], v[16:17]
	v_fma_f64 v[16:17], v[64:65], s[36:37], v[112:113]
	v_add_f64 v[6:7], v[250:251], v[6:7]
	v_add_f64 v[56:57], v[56:57], v[148:149]
	;; [unrolled: 1-line block ×4, first 2 shown]
	v_mul_f64 v[158:159], v[26:27], s[4:5]
	v_mul_f64 v[150:151], v[26:27], s[18:19]
	v_add_f64 v[112:113], v[12:13], v[114:115]
	v_fma_f64 v[12:13], v[46:47], s[38:39], v[14:15]
	v_fma_f64 v[4:5], v[26:27], s[20:21], -v[4:5]
	v_add_f64 v[6:7], v[16:17], v[6:7]
	v_add_f64 v[14:15], v[60:61], v[156:157]
	;; [unrolled: 1-line block ×5, first 2 shown]
	v_mul_f64 v[160:161], v[32:33], s[18:19]
	v_mul_f64 v[154:155], v[32:33], s[28:29]
	v_fma_f64 v[32:33], v[32:33], s[30:31], -v[100:101]
	v_add_f64 v[6:7], v[12:13], v[6:7]
	v_add_f64 v[12:13], v[104:105], v[164:165]
	;; [unrolled: 1-line block ×7, first 2 shown]
	v_add_f64 v[8:9], v[158:159], -v[8:9]
	v_add_f64 v[10:11], v[150:151], -v[10:11]
	v_mul_f64 v[74:75], v[42:43], s[20:21]
	v_add_f64 v[12:13], v[12:13], v[14:15]
	v_add_f64 v[14:15], v[16:17], v[234:235]
	;; [unrolled: 1-line block ×7, first 2 shown]
	v_add_f64 v[28:29], v[160:161], -v[28:29]
	v_add_f64 v[8:9], v[248:249], v[8:9]
	v_add_f64 v[14:15], v[14:15], v[232:233]
	;; [unrolled: 1-line block ×3, first 2 shown]
	v_mul_f64 v[162:163], v[42:43], s[30:31]
	v_add_f64 v[12:13], v[32:33], v[12:13]
	v_add_f64 v[32:33], v[154:155], -v[38:39]
	v_add_f64 v[10:11], v[248:249], v[10:11]
	v_mul_f64 v[166:167], v[54:55], s[28:29]
	v_add_f64 v[36:37], v[36:37], v[120:121]
	v_add_f64 v[14:15], v[14:15], v[22:23]
	;; [unrolled: 1-line block ×4, first 2 shown]
	v_add_f64 v[30:31], v[74:75], -v[34:35]
	v_add_f64 v[8:9], v[28:29], v[8:9]
	v_mul_f64 v[171:172], v[54:55], s[20:21]
	v_add_f64 v[38:39], v[162:163], -v[62:63]
	v_add_f64 v[10:11], v[32:33], v[10:11]
	v_add_f64 v[14:15], v[14:15], v[84:85]
	;; [unrolled: 1-line block ×3, first 2 shown]
	v_fma_f64 v[42:43], v[42:43], s[18:19], -v[110:111]
	v_mul_f64 v[175:176], v[66:67], s[30:31]
	v_add_f64 v[22:23], v[44:45], v[169:170]
	v_add_f64 v[24:25], v[36:37], v[24:25]
	v_add_f64 v[28:29], v[166:167], -v[40:41]
	v_add_f64 v[8:9], v[30:31], v[8:9]
	v_add_f64 v[14:15], v[14:15], v[80:81]
	v_add_f64 v[16:17], v[16:17], v[20:21]
	v_mul_f64 v[192:193], v[66:67], s[4:5]
	v_add_f64 v[18:19], v[171:172], -v[98:99]
	v_add_f64 v[10:11], v[38:39], v[10:11]
	v_fma_f64 v[64:65], v[66:67], s[28:29], v[50:51]
	v_fma_f64 v[56:57], v[58:59], s[14:15], v[132:133]
	v_fma_f64 v[26:27], v[66:67], s[28:29], -v[50:51]
	v_fma_f64 v[50:51], v[54:55], s[4:5], -v[116:117]
	v_add_f64 v[4:5], v[42:43], v[4:5]
	v_add_f64 v[32:33], v[14:15], v[72:73]
	v_add_f64 v[16:17], v[16:17], v[68:69]
	v_add_f64 v[42:43], v[108:109], v[194:195]
	v_add_f64 v[30:31], v[52:53], v[140:141]
	v_add_f64 v[22:23], v[22:23], v[24:25]
	v_add_f64 v[24:25], v[175:176], -v[48:49]
	v_add_f64 v[8:9], v[28:29], v[8:9]
	v_add_f64 v[20:21], v[192:193], -v[96:97]
	v_add_f64 v[28:29], v[18:19], v[10:11]
	v_fma_f64 v[46:47], v[94:95], s[22:23], v[102:103]
	v_add_f64 v[6:7], v[56:57], v[6:7]
	v_add_f64 v[4:5], v[50:51], v[4:5]
	v_fma_f64 v[177:178], v[66:67], s[18:19], v[179:180]
	v_fma_f64 v[179:180], v[66:67], s[18:19], -v[179:180]
	v_fma_f64 v[184:185], v[94:95], s[46:47], v[102:103]
	v_add_f64 v[18:19], v[32:33], v[70:71]
	v_add_f64 v[16:17], v[16:17], v[242:243]
	;; [unrolled: 1-line block ×12, first 2 shown]
	ds_write_b128 v168, v[16:19] offset:704
	ds_write_b128 v168, v[12:15] offset:2048
	;; [unrolled: 1-line block ×11, first 2 shown]
.LBB0_15:
	s_or_b64 exec, exec, s[44:45]
	s_waitcnt lgkmcnt(0)
	; wave barrier
	s_waitcnt lgkmcnt(0)
	buffer_load_dword v19, off, s[48:51], 0 offset:12 ; 4-byte Folded Reload
	v_mov_b32_e32 v0, s17
	v_addc_co_u32_e64 v4, vcc, 0, v0, s[6:7]
	s_movk_i32 s4, 0x39c0
	s_movk_i32 s6, 0x3000
	ds_read_b128 v[5:8], v168
	s_waitcnt vmcnt(0)
	v_add_co_u32_e32 v0, vcc, s4, v19
	v_addc_co_u32_e32 v1, vcc, 0, v4, vcc
	v_add_co_u32_e32 v2, vcc, s6, v19
	v_addc_co_u32_e32 v3, vcc, 0, v4, vcc
	global_load_dwordx4 v[9:12], v[2:3], off offset:2496
	s_movk_i32 s4, 0x5000
	s_waitcnt vmcnt(0) lgkmcnt(0)
	v_mul_f64 v[2:3], v[7:8], v[11:12]
	v_fma_f64 v[13:14], v[5:6], v[9:10], -v[2:3]
	v_mul_f64 v[2:3], v[5:6], v[11:12]
	v_fma_f64 v[15:16], v[7:8], v[9:10], v[2:3]
	v_add_co_u32_e32 v2, vcc, s4, v19
	v_addc_co_u32_e32 v3, vcc, 0, v4, vcc
	global_load_dwordx4 v[9:12], v[2:3], off offset:1696
	ds_read_b128 v[5:8], v168 offset:7392
	s_movk_i32 s4, 0x6000
	ds_write_b128 v168, v[13:16]
	v_add_co_u32_e32 v17, vcc, s4, v19
	v_addc_co_u32_e32 v18, vcc, 0, v4, vcc
	s_movk_i32 s4, 0x4000
	v_add_co_u32_e32 v19, vcc, s4, v19
	v_addc_co_u32_e32 v20, vcc, 0, v4, vcc
	s_waitcnt vmcnt(0) lgkmcnt(1)
	v_mul_f64 v[13:14], v[7:8], v[11:12]
	v_fma_f64 v[13:14], v[5:6], v[9:10], -v[13:14]
	v_mul_f64 v[5:6], v[5:6], v[11:12]
	v_fma_f64 v[15:16], v[7:8], v[9:10], v[5:6]
	global_load_dwordx4 v[9:12], v[0:1], off offset:704
	ds_read_b128 v[5:8], v168 offset:704
	ds_write_b128 v168, v[13:16] offset:7392
	s_waitcnt vmcnt(0) lgkmcnt(1)
	v_mul_f64 v[13:14], v[7:8], v[11:12]
	v_fma_f64 v[13:14], v[5:6], v[9:10], -v[13:14]
	v_mul_f64 v[5:6], v[5:6], v[11:12]
	v_fma_f64 v[15:16], v[7:8], v[9:10], v[5:6]
	global_load_dwordx4 v[9:12], v[2:3], off offset:2400
	ds_read_b128 v[5:8], v168 offset:8096
	ds_write_b128 v168, v[13:16] offset:704
	;; [unrolled: 8-line block ×17, first 2 shown]
	s_waitcnt vmcnt(0) lgkmcnt(1)
	v_mul_f64 v[2:3], v[6:7], v[10:11]
	v_fma_f64 v[2:3], v[4:5], v[8:9], -v[2:3]
	v_mul_f64 v[4:5], v[4:5], v[10:11]
	v_fma_f64 v[4:5], v[6:7], v[8:9], v[4:5]
	global_load_dwordx4 v[6:9], v[17:18], off offset:3936
	ds_write_b128 v168, v[2:5] offset:6336
	ds_read_b128 v[2:5], v168 offset:13728
	s_waitcnt vmcnt(0) lgkmcnt(0)
	v_mul_f64 v[10:11], v[4:5], v[8:9]
	v_fma_f64 v[10:11], v[2:3], v[6:7], -v[10:11]
	v_mul_f64 v[2:3], v[2:3], v[8:9]
	v_fma_f64 v[12:13], v[4:5], v[6:7], v[2:3]
	ds_write_b128 v168, v[10:13] offset:13728
	s_and_saveexec_b64 s[4:5], s[0:1]
	s_cbranch_execz .LBB0_17
; %bb.16:
	v_add_co_u32_e32 v6, vcc, 0x1000, v0
	v_addc_co_u32_e32 v7, vcc, 0, v1, vcc
	global_load_dwordx4 v[6:9], v[6:7], off offset:2944
	ds_read_b128 v[2:5], v168 offset:7040
	v_add_co_u32_e32 v0, vcc, s6, v0
	v_addc_co_u32_e32 v1, vcc, 0, v1, vcc
	s_waitcnt vmcnt(0) lgkmcnt(0)
	v_mul_f64 v[10:11], v[4:5], v[8:9]
	v_fma_f64 v[10:11], v[2:3], v[6:7], -v[10:11]
	v_mul_f64 v[2:3], v[2:3], v[8:9]
	v_fma_f64 v[12:13], v[4:5], v[6:7], v[2:3]
	global_load_dwordx4 v[6:9], v[0:1], off offset:2144
	ds_read_b128 v[2:5], v168 offset:14432
	ds_write_b128 v168, v[10:13] offset:7040
	s_waitcnt vmcnt(0) lgkmcnt(1)
	v_mul_f64 v[0:1], v[4:5], v[8:9]
	v_fma_f64 v[0:1], v[2:3], v[6:7], -v[0:1]
	v_mul_f64 v[2:3], v[2:3], v[8:9]
	v_fma_f64 v[2:3], v[4:5], v[6:7], v[2:3]
	ds_write_b128 v168, v[0:3] offset:14432
.LBB0_17:
	s_or_b64 exec, exec, s[4:5]
	s_waitcnt lgkmcnt(0)
	; wave barrier
	s_waitcnt lgkmcnt(0)
	ds_read_b128 v[60:63], v168
	ds_read_b128 v[64:67], v168 offset:704
	ds_read_b128 v[248:251], v168 offset:7392
	;; [unrolled: 1-line block ×19, first 2 shown]
	s_and_saveexec_b64 s[4:5], s[0:1]
	s_cbranch_execz .LBB0_19
; %bb.18:
	ds_read_b128 v[252:255], v168 offset:7040
	ds_read_b128 v[244:247], v168 offset:14432
.LBB0_19:
	s_or_b64 exec, exec, s[4:5]
	s_waitcnt lgkmcnt(0)
	; wave barrier
	s_waitcnt lgkmcnt(0)
	buffer_load_dword v88, off, s[48:51], 0 offset:356 ; 4-byte Folded Reload
	v_add_f64 v[76:77], v[60:61], -v[248:249]
	v_add_f64 v[78:79], v[62:63], -v[250:251]
	;; [unrolled: 1-line block ×8, first 2 shown]
	v_fma_f64 v[60:61], v[60:61], 2.0, -v[76:77]
	v_fma_f64 v[62:63], v[62:63], 2.0, -v[78:79]
	;; [unrolled: 1-line block ×8, first 2 shown]
	v_add_f64 v[48:49], v[32:33], -v[48:49]
	v_add_f64 v[50:51], v[34:35], -v[50:51]
	;; [unrolled: 1-line block ×8, first 2 shown]
	v_fma_f64 v[32:33], v[32:33], 2.0, -v[48:49]
	v_fma_f64 v[34:35], v[34:35], 2.0, -v[50:51]
	;; [unrolled: 1-line block ×8, first 2 shown]
	v_add_f64 v[16:17], v[4:5], -v[16:17]
	v_add_f64 v[18:19], v[6:7], -v[18:19]
	;; [unrolled: 1-line block ×6, first 2 shown]
	s_waitcnt vmcnt(0)
	ds_write_b128 v88, v[60:63]
	ds_write_b128 v88, v[76:79] offset:16
	buffer_load_dword v60, off, s[48:51], 0 offset:360 ; 4-byte Folded Reload
	v_fma_f64 v[4:5], v[4:5], 2.0, -v[16:17]
	v_fma_f64 v[6:7], v[6:7], 2.0, -v[18:19]
	;; [unrolled: 1-line block ×6, first 2 shown]
	s_waitcnt vmcnt(0)
	ds_write_b128 v60, v[64:67]
	ds_write_b128 v60, v[72:75] offset:16
	buffer_load_dword v60, off, s[48:51], 0 offset:364 ; 4-byte Folded Reload
	s_waitcnt vmcnt(0)
	ds_write_b128 v60, v[56:59]
	ds_write_b128 v60, v[68:71] offset:16
	buffer_load_dword v56, off, s[48:51], 0 offset:368 ; 4-byte Folded Reload
	;; [unrolled: 4-line block ×8, first 2 shown]
	s_waitcnt vmcnt(0)
	ds_write_b128 v4, v[8:11]
	ds_write_b128 v4, v[80:83] offset:16
	s_and_saveexec_b64 s[4:5], s[0:1]
	s_cbranch_execz .LBB0_21
; %bb.20:
	buffer_load_dword v4, off, s[48:51], 0 offset:1012 ; 4-byte Folded Reload
	s_waitcnt vmcnt(0)
	ds_write_b128 v4, v[0:3]
	ds_write_b128 v4, v[12:15] offset:16
.LBB0_21:
	s_or_b64 exec, exec, s[4:5]
	s_waitcnt lgkmcnt(0)
	; wave barrier
	s_waitcnt lgkmcnt(0)
	ds_read_b128 v[44:47], v168
	ds_read_b128 v[40:43], v168 offset:704
	ds_read_b128 v[252:255], v168 offset:7392
	;; [unrolled: 1-line block ×19, first 2 shown]
	s_and_saveexec_b64 s[4:5], s[0:1]
	s_cbranch_execz .LBB0_23
; %bb.22:
	ds_read_b128 v[0:3], v168 offset:7040
	ds_read_b128 v[12:15], v168 offset:14432
.LBB0_23:
	s_or_b64 exec, exec, s[4:5]
	s_waitcnt lgkmcnt(12)
	v_mul_f64 v[88:89], v[126:127], v[74:75]
	v_mul_f64 v[84:85], v[126:127], v[246:247]
	s_waitcnt lgkmcnt(0)
	; wave barrier
	s_waitcnt lgkmcnt(0)
	v_mul_f64 v[76:77], v[126:127], v[254:255]
	v_mul_f64 v[78:79], v[126:127], v[252:253]
	;; [unrolled: 1-line block ×4, first 2 shown]
	v_fma_f64 v[88:89], v[124:125], v[72:73], v[88:89]
	v_mul_f64 v[72:73], v[126:127], v[72:73]
	v_fma_f64 v[84:85], v[124:125], v[244:245], v[84:85]
	v_mul_f64 v[86:87], v[126:127], v[244:245]
	v_fma_f64 v[76:77], v[124:125], v[252:253], v[76:77]
	v_fma_f64 v[78:79], v[124:125], v[254:255], -v[78:79]
	v_fma_f64 v[80:81], v[124:125], v[248:249], v[80:81]
	v_fma_f64 v[82:83], v[124:125], v[250:251], -v[82:83]
	v_fma_f64 v[72:73], v[124:125], v[74:75], -v[72:73]
	v_mul_f64 v[74:75], v[126:127], v[70:71]
	v_fma_f64 v[86:87], v[124:125], v[246:247], -v[86:87]
	v_fma_f64 v[74:75], v[124:125], v[68:69], v[74:75]
	v_mul_f64 v[68:69], v[126:127], v[68:69]
	v_fma_f64 v[68:69], v[124:125], v[70:71], -v[68:69]
	v_mul_f64 v[70:71], v[126:127], v[66:67]
	v_fma_f64 v[70:71], v[124:125], v[64:65], v[70:71]
	v_mul_f64 v[64:65], v[126:127], v[64:65]
	v_fma_f64 v[66:67], v[124:125], v[66:67], -v[64:65]
	v_mul_f64 v[64:65], v[126:127], v[62:63]
	v_add_f64 v[66:67], v[26:27], -v[66:67]
	v_fma_f64 v[90:91], v[124:125], v[60:61], v[64:65]
	v_mul_f64 v[60:61], v[126:127], v[60:61]
	v_add_f64 v[64:65], v[24:25], -v[70:71]
	v_fma_f64 v[26:27], v[26:27], 2.0, -v[66:67]
	v_fma_f64 v[92:93], v[124:125], v[62:63], -v[60:61]
	v_mul_f64 v[60:61], v[126:127], v[58:59]
	v_add_f64 v[62:63], v[30:31], -v[68:69]
	v_fma_f64 v[24:25], v[24:25], 2.0, -v[64:65]
	v_add_f64 v[68:69], v[20:21], -v[90:91]
	v_add_f64 v[70:71], v[22:23], -v[92:93]
	v_fma_f64 v[94:95], v[124:125], v[56:57], v[60:61]
	v_mul_f64 v[56:57], v[126:127], v[56:57]
	v_add_f64 v[60:61], v[28:29], -v[74:75]
	v_fma_f64 v[30:31], v[30:31], 2.0, -v[62:63]
	v_fma_f64 v[20:21], v[20:21], 2.0, -v[68:69]
	;; [unrolled: 1-line block ×3, first 2 shown]
	v_fma_f64 v[96:97], v[124:125], v[58:59], -v[56:57]
	v_mul_f64 v[56:57], v[126:127], v[54:55]
	v_add_f64 v[58:59], v[34:35], -v[72:73]
	v_fma_f64 v[28:29], v[28:29], 2.0, -v[60:61]
	v_add_f64 v[72:73], v[16:17], -v[94:95]
	v_add_f64 v[74:75], v[18:19], -v[96:97]
	v_fma_f64 v[98:99], v[124:125], v[52:53], v[56:57]
	v_mul_f64 v[52:53], v[126:127], v[52:53]
	v_add_f64 v[56:57], v[32:33], -v[88:89]
	v_fma_f64 v[34:35], v[34:35], 2.0, -v[58:59]
	v_fma_f64 v[16:17], v[16:17], 2.0, -v[72:73]
	;; [unrolled: 1-line block ×3, first 2 shown]
	v_fma_f64 v[100:101], v[124:125], v[54:55], -v[52:53]
	v_mul_f64 v[52:53], v[126:127], v[50:51]
	v_add_f64 v[54:55], v[38:39], -v[86:87]
	v_fma_f64 v[32:33], v[32:33], 2.0, -v[56:57]
	v_fma_f64 v[102:103], v[124:125], v[48:49], v[52:53]
	v_add_f64 v[52:53], v[36:37], -v[84:85]
	buffer_load_dword v84, off, s[48:51], 0 offset:352 ; 4-byte Folded Reload
	v_mul_f64 v[48:49], v[126:127], v[48:49]
	v_fma_f64 v[38:39], v[38:39], 2.0, -v[54:55]
	v_fma_f64 v[36:37], v[36:37], 2.0, -v[52:53]
	v_fma_f64 v[104:105], v[124:125], v[50:51], -v[48:49]
	v_mul_f64 v[48:49], v[126:127], v[14:15]
	v_add_f64 v[50:51], v[42:43], -v[82:83]
	v_add_f64 v[82:83], v[6:7], -v[104:105]
	v_fma_f64 v[106:107], v[124:125], v[12:13], v[48:49]
	v_mul_f64 v[12:13], v[126:127], v[12:13]
	v_add_f64 v[48:49], v[40:41], -v[80:81]
	v_fma_f64 v[42:43], v[42:43], 2.0, -v[50:51]
	v_add_f64 v[80:81], v[4:5], -v[102:103]
	v_fma_f64 v[6:7], v[6:7], 2.0, -v[82:83]
	v_fma_f64 v[108:109], v[124:125], v[14:15], -v[12:13]
	v_add_f64 v[12:13], v[44:45], -v[76:77]
	v_add_f64 v[14:15], v[46:47], -v[78:79]
	v_fma_f64 v[40:41], v[40:41], 2.0, -v[48:49]
	v_add_f64 v[76:77], v[8:9], -v[98:99]
	v_add_f64 v[78:79], v[10:11], -v[100:101]
	v_fma_f64 v[4:5], v[4:5], 2.0, -v[80:81]
	;; [unrolled: 3-line block ×3, first 2 shown]
	v_fma_f64 v[46:47], v[46:47], 2.0, -v[14:15]
	s_waitcnt vmcnt(0)
	ds_write_b128 v84, v[44:47]
	ds_write_b128 v84, v[12:15] offset:32
	buffer_load_dword v12, off, s[48:51], 0 offset:348 ; 4-byte Folded Reload
	v_fma_f64 v[8:9], v[8:9], 2.0, -v[76:77]
	v_fma_f64 v[10:11], v[10:11], 2.0, -v[78:79]
	s_waitcnt vmcnt(0)
	ds_write_b128 v12, v[40:43]
	ds_write_b128 v12, v[48:51] offset:32
	buffer_load_dword v12, off, s[48:51], 0 offset:344 ; 4-byte Folded Reload
	s_waitcnt vmcnt(0)
	ds_write_b128 v12, v[36:39]
	ds_write_b128 v12, v[52:55] offset:32
	buffer_load_dword v12, off, s[48:51], 0 offset:340 ; 4-byte Folded Reload
	;; [unrolled: 4-line block ×8, first 2 shown]
	s_waitcnt vmcnt(0)
	ds_write_b128 v8, v[4:7]
	ds_write_b128 v8, v[80:83] offset:32
	s_and_saveexec_b64 s[4:5], s[0:1]
	s_cbranch_execz .LBB0_25
; %bb.24:
	buffer_load_dword v4, off, s[48:51], 0 offset:1008 ; 4-byte Folded Reload
	buffer_load_dword v5, off, s[48:51], 0 offset:400 ; 4-byte Folded Reload
	v_fma_f64 v[2:3], v[2:3], 2.0, -v[126:127]
	v_fma_f64 v[0:1], v[0:1], 2.0, -v[124:125]
	s_movk_i32 s6, 0x3fc
	s_waitcnt vmcnt(0)
	v_and_or_b32 v4, v5, s6, v4
	v_lshlrev_b32_e32 v4, 4, v4
	ds_write_b128 v4, v[0:3]
	ds_write_b128 v4, v[124:127] offset:32
.LBB0_25:
	s_or_b64 exec, exec, s[4:5]
	s_waitcnt lgkmcnt(0)
	; wave barrier
	s_waitcnt lgkmcnt(0)
	ds_read_b128 v[24:27], v168
	ds_read_b128 v[16:19], v168 offset:4928
	ds_read_b128 v[28:31], v168 offset:9856
	ds_read_b128 v[36:39], v168 offset:704
	ds_read_b128 v[32:35], v168 offset:5632
	ds_read_b128 v[40:43], v168 offset:10560
	ds_read_b128 v[20:23], v168 offset:1408
	ds_read_b128 v[44:47], v168 offset:6336
	ds_read_b128 v[48:51], v168 offset:11264
	ds_read_b128 v[12:15], v168 offset:2112
	ds_read_b128 v[52:55], v168 offset:7040
	ds_read_b128 v[56:59], v168 offset:11968
	ds_read_b128 v[8:11], v168 offset:2816
	ds_read_b128 v[60:63], v168 offset:7744
	ds_read_b128 v[64:67], v168 offset:12672
	ds_read_b128 v[4:7], v168 offset:3520
	ds_read_b128 v[68:71], v168 offset:8448
	ds_read_b128 v[72:75], v168 offset:13376
	ds_read_b128 v[0:3], v168 offset:4224
	ds_read_b128 v[76:79], v168 offset:9152
	ds_read_b128 v[80:83], v168 offset:14080
	buffer_load_dword v128, off, s[48:51], 0 offset:848 ; 4-byte Folded Reload
	buffer_load_dword v129, off, s[48:51], 0 offset:852 ; 4-byte Folded Reload
	;; [unrolled: 1-line block ×8, first 2 shown]
	s_mov_b32 s4, 0xe8584caa
	s_mov_b32 s5, 0xbfebb67a
	;; [unrolled: 1-line block ×4, first 2 shown]
	s_waitcnt lgkmcnt(0)
	; wave barrier
	s_waitcnt lgkmcnt(0)
	s_mov_b32 s16, 0xe976ee23
	s_mov_b32 s17, 0x3fe11646
	;; [unrolled: 1-line block ×16, first 2 shown]
	s_waitcnt vmcnt(4)
	v_mul_f64 v[84:85], v[130:131], v[18:19]
	v_fma_f64 v[84:85], v[128:129], v[16:17], v[84:85]
	v_mul_f64 v[16:17], v[130:131], v[16:17]
	v_fma_f64 v[86:87], v[128:129], v[18:19], -v[16:17]
	s_waitcnt vmcnt(0)
	v_mul_f64 v[16:17], v[122:123], v[30:31]
	v_fma_f64 v[88:89], v[120:121], v[28:29], v[16:17]
	v_mul_f64 v[16:17], v[122:123], v[28:29]
	v_add_f64 v[18:19], v[84:85], v[88:89]
	v_fma_f64 v[30:31], v[120:121], v[30:31], -v[16:17]
	v_mul_f64 v[16:17], v[130:131], v[34:35]
	v_fma_f64 v[18:19], v[18:19], -0.5, v[24:25]
	v_fma_f64 v[90:91], v[128:129], v[32:33], v[16:17]
	v_mul_f64 v[16:17], v[130:131], v[32:33]
	v_fma_f64 v[92:93], v[128:129], v[34:35], -v[16:17]
	v_mul_f64 v[16:17], v[122:123], v[42:43]
	v_fma_f64 v[94:95], v[120:121], v[40:41], v[16:17]
	v_mul_f64 v[16:17], v[122:123], v[40:41]
	v_add_f64 v[40:41], v[84:85], -v[88:89]
	v_fma_f64 v[96:97], v[120:121], v[42:43], -v[16:17]
	v_mul_f64 v[16:17], v[130:131], v[46:47]
	v_add_f64 v[42:43], v[90:91], v[94:95]
	v_fma_f64 v[98:99], v[128:129], v[44:45], v[16:17]
	v_mul_f64 v[16:17], v[130:131], v[44:45]
	v_fma_f64 v[42:43], v[42:43], -0.5, v[36:37]
	v_add_f64 v[44:45], v[92:93], -v[96:97]
	v_fma_f64 v[100:101], v[128:129], v[46:47], -v[16:17]
	v_mul_f64 v[16:17], v[122:123], v[50:51]
	v_add_f64 v[46:47], v[92:93], v[96:97]
	v_fma_f64 v[102:103], v[120:121], v[48:49], v[16:17]
	v_mul_f64 v[16:17], v[122:123], v[48:49]
	v_fma_f64 v[46:47], v[46:47], -0.5, v[38:39]
	;; [unrolled: 7-line block ×10, first 2 shown]
	v_add_f64 v[80:81], v[134:135], -v[138:139]
	v_fma_f64 v[120:121], v[120:121], v[82:83], -v[16:17]
	v_add_f64 v[16:17], v[24:25], v[84:85]
	v_add_f64 v[24:25], v[86:87], -v[30:31]
	v_add_f64 v[82:83], v[32:33], v[34:35]
	v_add_f64 v[84:85], v[128:129], -v[120:121]
	v_add_f64 v[16:17], v[16:17], v[88:89]
	v_fma_f64 v[28:29], v[24:25], s[4:5], v[18:19]
	v_fma_f64 v[24:25], v[24:25], s[6:7], v[18:19]
	v_add_f64 v[18:19], v[26:27], v[86:87]
	v_fma_f64 v[82:83], v[82:83], -0.5, v[0:1]
	v_add_f64 v[18:19], v[18:19], v[30:31]
	v_add_f64 v[30:31], v[86:87], v[30:31]
	;; [unrolled: 1-line block ×3, first 2 shown]
	v_fma_f64 v[26:27], v[30:31], -0.5, v[26:27]
	v_fma_f64 v[86:87], v[86:87], -0.5, v[2:3]
	v_fma_f64 v[30:31], v[40:41], s[6:7], v[26:27]
	v_fma_f64 v[26:27], v[40:41], s[4:5], v[26:27]
	v_add_f64 v[40:41], v[36:37], v[90:91]
	v_fma_f64 v[36:37], v[44:45], s[4:5], v[42:43]
	v_fma_f64 v[44:45], v[44:45], s[6:7], v[42:43]
	v_add_f64 v[42:43], v[38:39], v[92:93]
	;; [unrolled: 3-line block ×11, first 2 shown]
	v_add_f64 v[32:33], v[32:33], -v[34:35]
	v_fma_f64 v[0:1], v[84:85], s[4:5], v[82:83]
	v_fma_f64 v[84:85], v[84:85], s[6:7], v[82:83]
	v_add_f64 v[82:83], v[2:3], v[128:129]
	v_add_f64 v[40:41], v[40:41], v[94:95]
	;; [unrolled: 1-line block ×5, first 2 shown]
	v_fma_f64 v[2:3], v[32:33], s[6:7], v[86:87]
	v_fma_f64 v[86:87], v[32:33], s[4:5], v[86:87]
	buffer_load_dword v32, off, s[48:51], 0 offset:420 ; 4-byte Folded Reload
	v_add_f64 v[56:57], v[56:57], v[110:111]
	v_add_f64 v[58:59], v[58:59], v[112:113]
	;; [unrolled: 1-line block ×8, first 2 shown]
	s_mov_b32 s6, 0x37e14327
	s_waitcnt vmcnt(0)
	ds_write_b128 v32, v[16:19]
	ds_write_b128 v32, v[28:31] offset:64
	ds_write_b128 v32, v[24:27] offset:128
	buffer_load_dword v16, off, s[48:51], 0 offset:424 ; 4-byte Folded Reload
	s_mov_b32 s4, 0x36b3c0b5
	s_mov_b32 s7, 0x3fe948f6
	;; [unrolled: 1-line block ×3, first 2 shown]
	s_waitcnt vmcnt(0)
	ds_write_b128 v16, v[40:43]
	ds_write_b128 v16, v[36:39] offset:64
	ds_write_b128 v16, v[44:47] offset:128
	buffer_load_dword v16, off, s[48:51], 0 offset:428 ; 4-byte Folded Reload
	s_waitcnt vmcnt(0)
	ds_write_b128 v16, v[48:51]
	ds_write_b128 v16, v[20:23] offset:64
	ds_write_b128 v16, v[52:55] offset:128
	buffer_load_dword v16, off, s[48:51], 0 offset:432 ; 4-byte Folded Reload
	;; [unrolled: 5-line block ×5, first 2 shown]
	s_waitcnt vmcnt(0)
	ds_write_b128 v4, v[80:83]
	ds_write_b128 v4, v[0:3] offset:64
	ds_write_b128 v4, v[84:87] offset:128
	s_waitcnt lgkmcnt(0)
	; wave barrier
	s_waitcnt lgkmcnt(0)
	ds_read_b128 v[8:11], v168
	ds_read_b128 v[12:15], v168 offset:2112
	ds_read_b128 v[16:19], v168 offset:4224
	;; [unrolled: 1-line block ×20, first 2 shown]
	buffer_load_dword v86, off, s[48:51], 0 offset:512 ; 4-byte Folded Reload
	buffer_load_dword v87, off, s[48:51], 0 offset:516 ; 4-byte Folded Reload
	buffer_load_dword v88, off, s[48:51], 0 offset:520 ; 4-byte Folded Reload
	buffer_load_dword v89, off, s[48:51], 0 offset:524 ; 4-byte Folded Reload
	s_waitcnt vmcnt(0) lgkmcnt(14)
	v_mul_f64 v[84:85], v[88:89], v[14:15]
	v_fma_f64 v[84:85], v[86:87], v[12:13], v[84:85]
	v_mul_f64 v[12:13], v[88:89], v[12:13]
	v_fma_f64 v[12:13], v[86:87], v[14:15], -v[12:13]
	buffer_load_dword v86, off, s[48:51], 0 offset:480 ; 4-byte Folded Reload
	buffer_load_dword v87, off, s[48:51], 0 offset:484 ; 4-byte Folded Reload
	buffer_load_dword v88, off, s[48:51], 0 offset:488 ; 4-byte Folded Reload
	buffer_load_dword v89, off, s[48:51], 0 offset:492 ; 4-byte Folded Reload
	s_waitcnt vmcnt(0)
	v_mul_f64 v[14:15], v[88:89], v[18:19]
	v_fma_f64 v[14:15], v[86:87], v[16:17], v[14:15]
	v_mul_f64 v[16:17], v[88:89], v[16:17]
	v_fma_f64 v[16:17], v[86:87], v[18:19], -v[16:17]
	buffer_load_dword v86, off, s[48:51], 0 offset:464 ; 4-byte Folded Reload
	buffer_load_dword v87, off, s[48:51], 0 offset:468 ; 4-byte Folded Reload
	buffer_load_dword v88, off, s[48:51], 0 offset:472 ; 4-byte Folded Reload
	buffer_load_dword v89, off, s[48:51], 0 offset:476 ; 4-byte Folded Reload
	s_waitcnt vmcnt(0)
	;; [unrolled: 9-line block ×5, first 2 shown]
	v_mul_f64 v[30:31], v[88:89], v[34:35]
	v_fma_f64 v[30:31], v[86:87], v[32:33], v[30:31]
	v_mul_f64 v[32:33], v[88:89], v[32:33]
	buffer_load_dword v88, off, s[48:51], 0 offset:608 ; 4-byte Folded Reload
	buffer_load_dword v89, off, s[48:51], 0 offset:612 ; 4-byte Folded Reload
	;; [unrolled: 1-line block ×4, first 2 shown]
	v_fma_f64 v[32:33], v[86:87], v[34:35], -v[32:33]
	s_waitcnt vmcnt(0) lgkmcnt(12)
	v_mul_f64 v[34:35], v[90:91], v[38:39]
	v_fma_f64 v[86:87], v[88:89], v[36:37], v[34:35]
	v_mul_f64 v[34:35], v[90:91], v[36:37]
	v_fma_f64 v[36:37], v[88:89], v[38:39], -v[34:35]
	buffer_load_dword v88, off, s[48:51], 0 offset:592 ; 4-byte Folded Reload
	buffer_load_dword v89, off, s[48:51], 0 offset:596 ; 4-byte Folded Reload
	buffer_load_dword v90, off, s[48:51], 0 offset:600 ; 4-byte Folded Reload
	buffer_load_dword v91, off, s[48:51], 0 offset:604 ; 4-byte Folded Reload
	s_waitcnt vmcnt(0) lgkmcnt(11)
	v_mul_f64 v[34:35], v[90:91], v[42:43]
	v_fma_f64 v[38:39], v[88:89], v[40:41], v[34:35]
	v_mul_f64 v[34:35], v[90:91], v[40:41]
	v_fma_f64 v[40:41], v[88:89], v[42:43], -v[34:35]
	buffer_load_dword v88, off, s[48:51], 0 offset:560 ; 4-byte Folded Reload
	buffer_load_dword v89, off, s[48:51], 0 offset:564 ; 4-byte Folded Reload
	buffer_load_dword v90, off, s[48:51], 0 offset:568 ; 4-byte Folded Reload
	buffer_load_dword v91, off, s[48:51], 0 offset:572 ; 4-byte Folded Reload
	;; [unrolled: 9-line block ×11, first 2 shown]
	s_waitcnt lgkmcnt(0)
	; wave barrier
	s_waitcnt vmcnt(0) lgkmcnt(0)
	v_mul_f64 v[34:35], v[90:91], v[82:83]
	v_fma_f64 v[78:79], v[88:89], v[80:81], v[34:35]
	v_mul_f64 v[34:35], v[90:91], v[80:81]
	v_fma_f64 v[80:81], v[88:89], v[82:83], -v[34:35]
	v_add_f64 v[34:35], v[84:85], v[30:31]
	v_add_f64 v[82:83], v[12:13], v[32:33]
	v_add_f64 v[30:31], v[84:85], -v[30:31]
	v_add_f64 v[12:13], v[12:13], -v[32:33]
	v_add_f64 v[32:33], v[14:15], v[26:27]
	v_add_f64 v[84:85], v[16:17], v[28:29]
	v_add_f64 v[14:15], v[14:15], -v[26:27]
	v_add_f64 v[16:17], v[16:17], -v[28:29]
	;; [unrolled: 4-line block ×4, first 2 shown]
	v_add_f64 v[34:35], v[34:35], -v[26:27]
	v_add_f64 v[82:83], v[82:83], -v[28:29]
	;; [unrolled: 1-line block ×4, first 2 shown]
	v_add_f64 v[92:93], v[18:19], v[14:15]
	v_add_f64 v[94:95], v[20:21], v[16:17]
	v_add_f64 v[96:97], v[18:19], -v[14:15]
	v_add_f64 v[98:99], v[20:21], -v[16:17]
	v_add_f64 v[22:23], v[26:27], v[22:23]
	v_add_f64 v[24:25], v[28:29], v[24:25]
	v_add_f64 v[18:19], v[30:31], -v[18:19]
	v_add_f64 v[20:21], v[12:13], -v[20:21]
	;; [unrolled: 1-line block ×4, first 2 shown]
	v_add_f64 v[26:27], v[92:93], v[30:31]
	v_add_f64 v[12:13], v[94:95], v[12:13]
	;; [unrolled: 1-line block ×4, first 2 shown]
	v_mul_f64 v[28:29], v[34:35], s[6:7]
	v_mul_f64 v[30:31], v[82:83], s[6:7]
	;; [unrolled: 1-line block ×8, first 2 shown]
	v_fma_f64 v[22:23], v[22:23], s[18:19], v[8:9]
	v_fma_f64 v[24:25], v[24:25], s[18:19], v[10:11]
	;; [unrolled: 1-line block ×4, first 2 shown]
	v_fma_f64 v[34:35], v[88:89], s[20:21], -v[34:35]
	v_fma_f64 v[82:83], v[90:91], s[20:21], -v[82:83]
	;; [unrolled: 1-line block ×4, first 2 shown]
	v_fma_f64 v[88:89], v[18:19], s[26:27], v[92:93]
	v_fma_f64 v[14:15], v[14:15], s[14:15], -v[92:93]
	v_fma_f64 v[16:17], v[16:17], s[14:15], -v[94:95]
	v_fma_f64 v[90:91], v[20:21], s[26:27], v[94:95]
	v_fma_f64 v[18:19], v[18:19], s[28:29], -v[96:97]
	v_fma_f64 v[20:21], v[20:21], s[28:29], -v[98:99]
	v_add_f64 v[84:85], v[84:85], v[24:25]
	v_add_f64 v[34:35], v[34:35], v[22:23]
	;; [unrolled: 1-line block ×4, first 2 shown]
	v_fma_f64 v[88:89], v[26:27], s[22:23], v[88:89]
	v_fma_f64 v[92:93], v[26:27], s[22:23], v[14:15]
	;; [unrolled: 1-line block ×3, first 2 shown]
	v_add_f64 v[32:33], v[32:33], v[22:23]
	v_add_f64 v[28:29], v[28:29], v[22:23]
	v_fma_f64 v[94:95], v[26:27], s[22:23], v[18:19]
	v_fma_f64 v[96:97], v[12:13], s[22:23], v[20:21]
	;; [unrolled: 1-line block ×3, first 2 shown]
	v_add_f64 v[14:15], v[84:85], -v[88:89]
	v_add_f64 v[22:23], v[92:93], v[82:83]
	v_add_f64 v[20:21], v[34:35], -v[24:25]
	v_add_f64 v[24:25], v[24:25], v[34:35]
	;; [unrolled: 2-line block ×3, first 2 shown]
	v_add_f64 v[82:83], v[86:87], v[54:55]
	v_add_f64 v[84:85], v[36:37], v[56:57]
	v_add_f64 v[54:55], v[86:87], -v[54:55]
	v_add_f64 v[36:37], v[36:37], -v[56:57]
	v_add_f64 v[56:57], v[38:39], v[50:51]
	v_add_f64 v[86:87], v[40:41], v[52:53]
	v_add_f64 v[38:39], v[38:39], -v[50:51]
	v_add_f64 v[40:41], v[40:41], -v[52:53]
	;; [unrolled: 4-line block ×3, first 2 shown]
	v_add_f64 v[46:47], v[56:57], v[82:83]
	v_add_f64 v[48:49], v[86:87], v[84:85]
	;; [unrolled: 1-line block ×4, first 2 shown]
	v_add_f64 v[18:19], v[30:31], -v[94:95]
	v_add_f64 v[28:29], v[28:29], -v[96:97]
	v_add_f64 v[30:31], v[94:95], v[30:31]
	v_add_f64 v[32:33], v[32:33], -v[90:91]
	v_add_f64 v[88:89], v[56:57], -v[82:83]
	;; [unrolled: 1-line block ×7, first 2 shown]
	v_add_f64 v[92:93], v[42:43], v[38:39]
	v_add_f64 v[94:95], v[44:45], v[40:41]
	v_add_f64 v[96:97], v[42:43], -v[38:39]
	v_add_f64 v[98:99], v[44:45], -v[40:41]
	;; [unrolled: 1-line block ×4, first 2 shown]
	v_add_f64 v[46:47], v[50:51], v[46:47]
	v_add_f64 v[48:49], v[52:53], v[48:49]
	v_add_f64 v[42:43], v[54:55], -v[42:43]
	v_add_f64 v[44:45], v[36:37], -v[44:45]
	v_add_f64 v[50:51], v[92:93], v[54:55]
	v_add_f64 v[36:37], v[94:95], v[36:37]
	v_mul_f64 v[52:53], v[82:83], s[6:7]
	v_mul_f64 v[54:55], v[84:85], s[6:7]
	v_add_f64 v[4:5], v[4:5], v[46:47]
	v_add_f64 v[6:7], v[6:7], v[48:49]
	v_mul_f64 v[82:83], v[56:57], s[4:5]
	v_mul_f64 v[84:85], v[86:87], s[4:5]
	;; [unrolled: 1-line block ×6, first 2 shown]
	v_fma_f64 v[46:47], v[46:47], s[18:19], v[4:5]
	v_fma_f64 v[48:49], v[48:49], s[18:19], v[6:7]
	;; [unrolled: 1-line block ×4, first 2 shown]
	v_fma_f64 v[82:83], v[88:89], s[20:21], -v[82:83]
	v_fma_f64 v[84:85], v[90:91], s[20:21], -v[84:85]
	v_fma_f64 v[52:53], v[88:89], s[24:25], -v[52:53]
	v_fma_f64 v[54:55], v[90:91], s[24:25], -v[54:55]
	v_fma_f64 v[88:89], v[42:43], s[26:27], v[92:93]
	v_fma_f64 v[90:91], v[44:45], s[26:27], v[94:95]
	v_fma_f64 v[38:39], v[38:39], s[14:15], -v[92:93]
	v_fma_f64 v[42:43], v[42:43], s[28:29], -v[96:97]
	;; [unrolled: 1-line block ×4, first 2 shown]
	v_add_f64 v[56:57], v[56:57], v[46:47]
	v_add_f64 v[86:87], v[86:87], v[48:49]
	;; [unrolled: 1-line block ×5, first 2 shown]
	v_fma_f64 v[54:55], v[50:51], s[22:23], v[88:89]
	v_fma_f64 v[88:89], v[36:37], s[22:23], v[90:91]
	;; [unrolled: 1-line block ×6, first 2 shown]
	v_add_f64 v[82:83], v[82:83], v[46:47]
	v_add_f64 v[38:39], v[86:87], -v[54:55]
	v_add_f64 v[36:37], v[88:89], v[56:57]
	v_add_f64 v[132:133], v[56:57], -v[88:89]
	v_add_f64 v[42:43], v[48:49], -v[50:51]
	v_add_f64 v[40:41], v[94:95], v[52:53]
	v_add_f64 v[128:129], v[52:53], -v[94:95]
	v_add_f64 v[130:131], v[50:51], v[48:49]
	v_add_f64 v[48:49], v[58:59], v[78:79]
	;; [unrolled: 1-line block ×3, first 2 shown]
	v_add_f64 v[52:53], v[58:59], -v[78:79]
	v_add_f64 v[56:57], v[62:63], v[74:75]
	v_add_f64 v[58:59], v[64:65], v[76:77]
	;; [unrolled: 1-line block ×3, first 2 shown]
	v_add_f64 v[54:55], v[60:61], -v[80:81]
	v_add_f64 v[60:61], v[62:63], -v[74:75]
	;; [unrolled: 1-line block ×3, first 2 shown]
	v_add_f64 v[64:65], v[66:67], v[70:71]
	v_add_f64 v[74:75], v[68:69], v[72:73]
	v_add_f64 v[66:67], v[70:71], -v[66:67]
	v_add_f64 v[68:69], v[72:73], -v[68:69]
	v_add_f64 v[70:71], v[56:57], v[48:49]
	v_add_f64 v[72:73], v[58:59], v[50:51]
	v_add_f64 v[44:45], v[82:83], -v[92:93]
	v_add_f64 v[120:121], v[92:93], v[82:83]
	v_add_f64 v[76:77], v[56:57], -v[48:49]
	v_add_f64 v[78:79], v[58:59], -v[50:51]
	;; [unrolled: 1-line block ×6, first 2 shown]
	v_add_f64 v[82:83], v[68:69], v[62:63]
	v_add_f64 v[86:87], v[68:69], -v[62:63]
	v_add_f64 v[62:63], v[62:63], -v[54:55]
	v_add_f64 v[64:65], v[64:65], v[70:71]
	v_add_f64 v[70:71], v[74:75], v[72:73]
	v_add_f64 v[68:69], v[54:55], -v[68:69]
	v_add_f64 v[46:47], v[90:91], v[84:85]
	v_add_f64 v[122:123], v[84:85], -v[90:91]
	v_add_f64 v[54:55], v[82:83], v[54:55]
	v_mul_f64 v[74:75], v[86:87], s[16:17]
	v_mul_f64 v[82:83], v[62:63], s[14:15]
	v_add_f64 v[136:137], v[0:1], v[64:65]
	v_add_f64 v[138:139], v[2:3], v[70:71]
	v_mul_f64 v[0:1], v[48:49], s[6:7]
	v_mul_f64 v[2:3], v[50:51], s[6:7]
	;; [unrolled: 1-line block ×4, first 2 shown]
	v_fma_f64 v[62:63], v[62:63], s[14:15], -v[74:75]
	v_add_f64 v[84:85], v[66:67], -v[60:61]
	v_fma_f64 v[64:65], v[64:65], s[18:19], v[136:137]
	v_fma_f64 v[70:71], v[70:71], s[18:19], v[138:139]
	;; [unrolled: 1-line block ×4, first 2 shown]
	v_fma_f64 v[50:51], v[78:79], s[20:21], -v[50:51]
	v_fma_f64 v[0:1], v[76:77], s[24:25], -v[0:1]
	;; [unrolled: 1-line block ×3, first 2 shown]
	v_fma_f64 v[78:79], v[68:69], s[26:27], v[74:75]
	v_fma_f64 v[68:69], v[68:69], s[28:29], -v[82:83]
	v_fma_f64 v[62:63], v[54:55], s[22:23], v[62:63]
	v_add_f64 v[80:81], v[66:67], v[60:61]
	v_add_f64 v[58:59], v[58:59], v[70:71]
	;; [unrolled: 1-line block ×5, first 2 shown]
	v_fma_f64 v[70:71], v[54:55], s[22:23], v[78:79]
	v_fma_f64 v[54:55], v[54:55], s[22:23], v[68:69]
	v_add_f64 v[60:61], v[60:61], -v[52:53]
	v_add_f64 v[66:67], v[52:53], -v[66:67]
	v_mul_f64 v[72:73], v[84:85], s[16:17]
	v_add_f64 v[52:53], v[80:81], v[52:53]
	v_fma_f64 v[48:49], v[76:77], s[20:21], -v[48:49]
	v_add_f64 v[56:57], v[56:57], v[64:65]
	v_add_f64 v[148:149], v[54:55], v[0:1]
	v_add_f64 v[144:145], v[0:1], -v[54:55]
	buffer_load_dword v0, off, s[48:51], 0 offset:736 ; 4-byte Folded Reload
	s_waitcnt vmcnt(0)
	ds_write_b128 v0, v[8:11]
	ds_write_b128 v0, v[12:15] offset:192
	ds_write_b128 v0, v[16:19] offset:384
	;; [unrolled: 1-line block ×6, first 2 shown]
	buffer_load_dword v0, off, s[48:51], 0 offset:740 ; 4-byte Folded Reload
	s_waitcnt vmcnt(0)
	ds_write_b128 v0, v[4:7]
	ds_write_b128 v0, v[36:39] offset:192
	ds_write_b128 v0, v[40:43] offset:384
	;; [unrolled: 1-line block ×6, first 2 shown]
	buffer_load_dword v0, off, s[48:51], 0 offset:744 ; 4-byte Folded Reload
	v_mul_f64 v[80:81], v[60:61], s[14:15]
	v_fma_f64 v[76:77], v[66:67], s[26:27], v[72:73]
	v_fma_f64 v[60:61], v[60:61], s[14:15], -v[72:73]
	v_add_f64 v[48:49], v[48:49], v[64:65]
	v_add_f64 v[140:141], v[70:71], v[56:57]
	v_add_f64 v[156:157], v[56:57], -v[70:71]
	v_fma_f64 v[66:67], v[66:67], s[28:29], -v[80:81]
	v_fma_f64 v[64:65], v[52:53], s[22:23], v[76:77]
	v_fma_f64 v[60:61], v[52:53], s[22:23], v[60:61]
	v_add_f64 v[160:161], v[48:49], -v[62:63]
	v_add_f64 v[152:153], v[62:63], v[48:49]
	v_fma_f64 v[52:53], v[52:53], s[22:23], v[66:67]
	v_add_f64 v[142:143], v[58:59], -v[64:65]
	v_add_f64 v[162:163], v[60:61], v[50:51]
	v_add_f64 v[154:155], v[50:51], -v[60:61]
	v_add_f64 v[158:159], v[64:65], v[58:59]
	;; [unrolled: 2-line block ×3, first 2 shown]
	s_waitcnt vmcnt(0)
	ds_write_b128 v0, v[136:139]
	ds_write_b128 v0, v[140:143] offset:192
	ds_write_b128 v0, v[148:151] offset:384
	;; [unrolled: 1-line block ×6, first 2 shown]
	s_waitcnt lgkmcnt(0)
	; wave barrier
	s_waitcnt lgkmcnt(0)
	ds_read_b128 v[0:3], v168
	ds_read_b128 v[40:43], v168 offset:1344
	ds_read_b128 v[36:39], v168 offset:2688
	;; [unrolled: 1-line block ×10, first 2 shown]
	s_and_saveexec_b64 s[4:5], s[2:3]
	s_cbranch_execz .LBB0_27
; %bb.26:
	ds_read_b128 v[120:123], v168 offset:704
	ds_read_b128 v[128:131], v168 offset:2048
	;; [unrolled: 1-line block ×11, first 2 shown]
.LBB0_27:
	s_or_b64 exec, exec, s[4:5]
	buffer_load_dword v46, off, s[48:51], 0 offset:816 ; 4-byte Folded Reload
	buffer_load_dword v47, off, s[48:51], 0 offset:820 ; 4-byte Folded Reload
	;; [unrolled: 1-line block ×4, first 2 shown]
	s_mov_b32 s4, 0xf8bb580b
	s_mov_b32 s14, 0x8eee2c13
	;; [unrolled: 1-line block ×30, first 2 shown]
	s_waitcnt vmcnt(0) lgkmcnt(9)
	v_mul_f64 v[44:45], v[48:49], v[42:43]
	v_fma_f64 v[44:45], v[46:47], v[40:41], v[44:45]
	v_mul_f64 v[40:41], v[48:49], v[40:41]
	v_fma_f64 v[40:41], v[46:47], v[42:43], -v[40:41]
	buffer_load_dword v46, off, s[48:51], 0 offset:796 ; 4-byte Folded Reload
	buffer_load_dword v47, off, s[48:51], 0 offset:800 ; 4-byte Folded Reload
	buffer_load_dword v48, off, s[48:51], 0 offset:804 ; 4-byte Folded Reload
	buffer_load_dword v49, off, s[48:51], 0 offset:808 ; 4-byte Folded Reload
	s_waitcnt vmcnt(0) lgkmcnt(8)
	v_mul_f64 v[42:43], v[48:49], v[38:39]
	v_fma_f64 v[42:43], v[46:47], v[36:37], v[42:43]
	v_mul_f64 v[36:37], v[48:49], v[36:37]
	v_fma_f64 v[38:39], v[46:47], v[38:39], -v[36:37]
	buffer_load_dword v46, off, s[48:51], 0 offset:780 ; 4-byte Folded Reload
	buffer_load_dword v47, off, s[48:51], 0 offset:784 ; 4-byte Folded Reload
	buffer_load_dword v48, off, s[48:51], 0 offset:788 ; 4-byte Folded Reload
	buffer_load_dword v49, off, s[48:51], 0 offset:792 ; 4-byte Folded Reload
	;; [unrolled: 9-line block ×4, first 2 shown]
	s_waitcnt vmcnt(0) lgkmcnt(5)
	v_mul_f64 v[28:29], v[48:49], v[26:27]
	v_fma_f64 v[28:29], v[46:47], v[24:25], v[28:29]
	v_mul_f64 v[24:25], v[48:49], v[24:25]
	v_fma_f64 v[24:25], v[46:47], v[26:27], -v[24:25]
	s_waitcnt lgkmcnt(4)
	v_mul_f64 v[26:27], v[226:227], v[22:23]
	v_add_f64 v[46:47], v[2:3], v[40:41]
	v_fma_f64 v[26:27], v[224:225], v[20:21], v[26:27]
	v_mul_f64 v[20:21], v[226:227], v[20:21]
	v_add_f64 v[46:47], v[46:47], v[38:39]
	v_fma_f64 v[20:21], v[224:225], v[22:23], -v[20:21]
	s_waitcnt lgkmcnt(3)
	v_mul_f64 v[22:23], v[222:223], v[18:19]
	v_add_f64 v[46:47], v[46:47], v[34:35]
	v_fma_f64 v[22:23], v[220:221], v[16:17], v[22:23]
	v_mul_f64 v[16:17], v[222:223], v[16:17]
	v_add_f64 v[46:47], v[46:47], v[30:31]
	;; [unrolled: 7-line block ×4, first 2 shown]
	v_fma_f64 v[8:9], v[212:213], v[10:11], -v[8:9]
	s_waitcnt lgkmcnt(0)
	v_mul_f64 v[10:11], v[210:211], v[6:7]
	v_add_f64 v[46:47], v[46:47], v[8:9]
	v_fma_f64 v[10:11], v[208:209], v[4:5], v[10:11]
	v_mul_f64 v[4:5], v[210:211], v[4:5]
	v_fma_f64 v[4:5], v[208:209], v[6:7], -v[4:5]
	v_add_f64 v[6:7], v[0:1], v[44:45]
	v_add_f64 v[166:167], v[46:47], v[4:5]
	;; [unrolled: 1-line block ×4, first 2 shown]
	v_add_f64 v[4:5], v[40:41], -v[4:5]
	v_add_f64 v[6:7], v[6:7], v[36:37]
	v_mul_f64 v[48:49], v[46:47], s[6:7]
	v_mul_f64 v[40:41], v[4:5], s[4:5]
	;; [unrolled: 1-line block ×7, first 2 shown]
	v_add_f64 v[6:7], v[6:7], v[32:33]
	v_mul_f64 v[64:65], v[46:47], s[22:23]
	v_mul_f64 v[72:73], v[46:47], s[24:25]
	;; [unrolled: 1-line block ×3, first 2 shown]
	v_add_f64 v[6:7], v[6:7], v[28:29]
	v_add_f64 v[6:7], v[6:7], v[26:27]
	;; [unrolled: 1-line block ×7, first 2 shown]
	v_add_f64 v[10:11], v[44:45], -v[10:11]
	v_fma_f64 v[44:45], v[6:7], s[6:7], v[40:41]
	v_fma_f64 v[40:41], v[6:7], s[6:7], -v[40:41]
	v_fma_f64 v[54:55], v[6:7], s[16:17], v[52:53]
	v_fma_f64 v[52:53], v[6:7], s[16:17], -v[52:53]
	v_fma_f64 v[62:63], v[6:7], s[22:23], v[60:61]
	v_fma_f64 v[60:61], v[6:7], s[22:23], -v[60:61]
	v_fma_f64 v[70:71], v[6:7], s[24:25], v[68:69]
	v_fma_f64 v[68:69], v[6:7], s[24:25], -v[68:69]
	v_fma_f64 v[76:77], v[6:7], s[28:29], v[4:5]
	v_fma_f64 v[4:5], v[6:7], s[28:29], -v[4:5]
	v_add_f64 v[44:45], v[0:1], v[44:45]
	v_fma_f64 v[50:51], v[10:11], s[18:19], v[48:49]
	v_add_f64 v[40:41], v[0:1], v[40:41]
	v_fma_f64 v[48:49], v[10:11], s[4:5], v[48:49]
	;; [unrolled: 2-line block ×10, first 2 shown]
	v_add_f64 v[6:7], v[38:39], v[8:9]
	v_add_f64 v[8:9], v[38:39], -v[8:9]
	v_add_f64 v[50:51], v[2:3], v[50:51]
	v_add_f64 v[48:49], v[2:3], v[48:49]
	;; [unrolled: 1-line block ×11, first 2 shown]
	v_add_f64 v[10:11], v[42:43], -v[14:15]
	v_mul_f64 v[14:15], v[8:9], s[14:15]
	v_mul_f64 v[42:43], v[6:7], s[16:17]
	v_fma_f64 v[38:39], v[4:5], s[16:17], v[14:15]
	v_fma_f64 v[14:15], v[4:5], s[16:17], -v[14:15]
	v_add_f64 v[38:39], v[38:39], v[44:45]
	v_fma_f64 v[44:45], v[10:11], s[34:35], v[42:43]
	v_add_f64 v[14:15], v[14:15], v[40:41]
	v_fma_f64 v[40:41], v[10:11], s[14:15], v[42:43]
	v_mul_f64 v[42:43], v[8:9], s[26:27]
	v_add_f64 v[44:45], v[44:45], v[50:51]
	v_add_f64 v[40:41], v[40:41], v[48:49]
	v_fma_f64 v[46:47], v[4:5], s[24:25], v[42:43]
	v_fma_f64 v[42:43], v[4:5], s[24:25], -v[42:43]
	v_mul_f64 v[48:49], v[6:7], s[24:25]
	v_add_f64 v[46:47], v[46:47], v[54:55]
	v_add_f64 v[42:43], v[42:43], v[52:53]
	v_mul_f64 v[52:53], v[8:9], s[38:39]
	v_fma_f64 v[50:51], v[10:11], s[40:41], v[48:49]
	v_fma_f64 v[48:49], v[10:11], s[26:27], v[48:49]
	;; [unrolled: 1-line block ×3, first 2 shown]
	v_fma_f64 v[52:53], v[4:5], s[28:29], -v[52:53]
	v_add_f64 v[48:49], v[48:49], v[56:57]
	v_mul_f64 v[56:57], v[6:7], s[28:29]
	v_add_f64 v[50:51], v[50:51], v[58:59]
	v_add_f64 v[54:55], v[54:55], v[62:63]
	;; [unrolled: 1-line block ×3, first 2 shown]
	v_mul_f64 v[60:61], v[8:9], s[36:37]
	v_fma_f64 v[58:59], v[10:11], s[30:31], v[56:57]
	v_fma_f64 v[56:57], v[10:11], s[38:39], v[56:57]
	v_mul_f64 v[8:9], v[8:9], s[18:19]
	v_fma_f64 v[62:63], v[4:5], s[22:23], v[60:61]
	v_fma_f64 v[60:61], v[4:5], s[22:23], -v[60:61]
	v_add_f64 v[56:57], v[56:57], v[64:65]
	v_mul_f64 v[64:65], v[6:7], s[22:23]
	v_mul_f64 v[6:7], v[6:7], s[6:7]
	v_add_f64 v[58:59], v[58:59], v[66:67]
	v_add_f64 v[62:63], v[62:63], v[70:71]
	;; [unrolled: 1-line block ×3, first 2 shown]
	v_fma_f64 v[68:69], v[4:5], s[6:7], v[8:9]
	v_fma_f64 v[4:5], v[4:5], s[6:7], -v[8:9]
	v_fma_f64 v[66:67], v[10:11], s[20:21], v[64:65]
	v_fma_f64 v[64:65], v[10:11], s[36:37], v[64:65]
	;; [unrolled: 1-line block ×3, first 2 shown]
	v_add_f64 v[8:9], v[36:37], -v[18:19]
	v_add_f64 v[68:69], v[68:69], v[76:77]
	v_add_f64 v[0:1], v[4:5], v[0:1]
	v_fma_f64 v[4:5], v[10:11], s[18:19], v[6:7]
	v_add_f64 v[10:11], v[34:35], -v[12:13]
	v_add_f64 v[6:7], v[34:35], v[12:13]
	v_add_f64 v[66:67], v[66:67], v[74:75]
	;; [unrolled: 1-line block ×6, first 2 shown]
	v_mul_f64 v[12:13], v[10:11], s[20:21]
	v_mul_f64 v[34:35], v[6:7], s[22:23]
	v_fma_f64 v[18:19], v[4:5], s[22:23], v[12:13]
	v_fma_f64 v[12:13], v[4:5], s[22:23], -v[12:13]
	v_fma_f64 v[36:37], v[8:9], s[36:37], v[34:35]
	v_add_f64 v[18:19], v[18:19], v[38:39]
	v_add_f64 v[12:13], v[12:13], v[14:15]
	v_fma_f64 v[14:15], v[8:9], s[20:21], v[34:35]
	v_mul_f64 v[34:35], v[10:11], s[38:39]
	v_add_f64 v[36:37], v[36:37], v[44:45]
	v_add_f64 v[14:15], v[14:15], v[40:41]
	v_fma_f64 v[38:39], v[4:5], s[28:29], v[34:35]
	v_fma_f64 v[34:35], v[4:5], s[28:29], -v[34:35]
	v_mul_f64 v[40:41], v[6:7], s[28:29]
	v_add_f64 v[38:39], v[38:39], v[46:47]
	v_add_f64 v[34:35], v[34:35], v[42:43]
	v_mul_f64 v[42:43], v[10:11], s[34:35]
	v_fma_f64 v[44:45], v[8:9], s[30:31], v[40:41]
	v_fma_f64 v[40:41], v[8:9], s[38:39], v[40:41]
	;; [unrolled: 1-line block ×3, first 2 shown]
	v_fma_f64 v[42:43], v[4:5], s[16:17], -v[42:43]
	v_add_f64 v[40:41], v[40:41], v[48:49]
	v_mul_f64 v[48:49], v[6:7], s[16:17]
	v_add_f64 v[44:45], v[44:45], v[50:51]
	v_add_f64 v[46:47], v[46:47], v[54:55]
	;; [unrolled: 1-line block ×3, first 2 shown]
	v_mul_f64 v[52:53], v[10:11], s[4:5]
	v_fma_f64 v[50:51], v[8:9], s[14:15], v[48:49]
	v_fma_f64 v[48:49], v[8:9], s[34:35], v[48:49]
	v_mul_f64 v[10:11], v[10:11], s[26:27]
	v_fma_f64 v[54:55], v[4:5], s[6:7], v[52:53]
	v_fma_f64 v[52:53], v[4:5], s[6:7], -v[52:53]
	v_add_f64 v[48:49], v[48:49], v[56:57]
	v_mul_f64 v[56:57], v[6:7], s[6:7]
	v_mul_f64 v[6:7], v[6:7], s[24:25]
	v_add_f64 v[50:51], v[50:51], v[58:59]
	v_add_f64 v[54:55], v[54:55], v[62:63]
	;; [unrolled: 1-line block ×3, first 2 shown]
	v_fma_f64 v[60:61], v[4:5], s[24:25], v[10:11]
	v_fma_f64 v[4:5], v[4:5], s[24:25], -v[10:11]
	v_add_f64 v[10:11], v[30:31], -v[16:17]
	v_fma_f64 v[62:63], v[8:9], s[40:41], v[6:7]
	v_fma_f64 v[58:59], v[8:9], s[18:19], v[56:57]
	;; [unrolled: 1-line block ×3, first 2 shown]
	v_add_f64 v[60:61], v[60:61], v[68:69]
	v_add_f64 v[0:1], v[4:5], v[0:1]
	v_fma_f64 v[4:5], v[8:9], s[26:27], v[6:7]
	v_add_f64 v[6:7], v[30:31], v[16:17]
	v_mul_f64 v[16:17], v[10:11], s[26:27]
	v_add_f64 v[8:9], v[32:33], -v[22:23]
	v_add_f64 v[58:59], v[58:59], v[66:67]
	v_add_f64 v[56:57], v[56:57], v[64:65]
	;; [unrolled: 1-line block ×3, first 2 shown]
	v_add_f64 v[66:67], v[24:25], -v[20:21]
	v_add_f64 v[2:3], v[4:5], v[2:3]
	v_add_f64 v[4:5], v[32:33], v[22:23]
	v_mul_f64 v[32:33], v[6:7], s[22:23]
	v_add_f64 v[64:65], v[28:29], -v[26:27]
	v_fma_f64 v[22:23], v[4:5], s[24:25], v[16:17]
	v_fma_f64 v[16:17], v[4:5], s[24:25], -v[16:17]
	v_add_f64 v[18:19], v[22:23], v[18:19]
	v_mul_f64 v[22:23], v[6:7], s[24:25]
	v_add_f64 v[12:13], v[16:17], v[12:13]
	v_fma_f64 v[16:17], v[8:9], s[26:27], v[22:23]
	v_fma_f64 v[30:31], v[8:9], s[40:41], v[22:23]
	v_add_f64 v[14:15], v[16:17], v[14:15]
	v_mul_f64 v[16:17], v[10:11], s[36:37]
	v_add_f64 v[30:31], v[30:31], v[36:37]
	v_fma_f64 v[36:37], v[8:9], s[20:21], v[32:33]
	v_fma_f64 v[32:33], v[8:9], s[36:37], v[32:33]
	;; [unrolled: 1-line block ×3, first 2 shown]
	v_fma_f64 v[16:17], v[4:5], s[22:23], -v[16:17]
	v_add_f64 v[36:37], v[36:37], v[44:45]
	v_add_f64 v[32:33], v[32:33], v[40:41]
	v_mul_f64 v[40:41], v[6:7], s[6:7]
	v_add_f64 v[22:23], v[22:23], v[38:39]
	v_add_f64 v[16:17], v[16:17], v[34:35]
	v_mul_f64 v[34:35], v[10:11], s[4:5]
	v_fma_f64 v[44:45], v[8:9], s[18:19], v[40:41]
	v_fma_f64 v[40:41], v[8:9], s[4:5], v[40:41]
	;; [unrolled: 1-line block ×3, first 2 shown]
	v_fma_f64 v[34:35], v[4:5], s[6:7], -v[34:35]
	v_add_f64 v[44:45], v[44:45], v[50:51]
	v_add_f64 v[40:41], v[40:41], v[48:49]
	v_mul_f64 v[48:49], v[6:7], s[28:29]
	v_mul_f64 v[6:7], v[6:7], s[16:17]
	v_add_f64 v[38:39], v[38:39], v[46:47]
	v_add_f64 v[34:35], v[34:35], v[42:43]
	v_mul_f64 v[42:43], v[10:11], s[30:31]
	v_mul_f64 v[10:11], v[10:11], s[34:35]
	v_fma_f64 v[50:51], v[8:9], s[38:39], v[48:49]
	v_fma_f64 v[48:49], v[8:9], s[30:31], v[48:49]
	;; [unrolled: 1-line block ×3, first 2 shown]
	v_fma_f64 v[42:43], v[4:5], s[28:29], -v[42:43]
	v_add_f64 v[50:51], v[50:51], v[58:59]
	v_add_f64 v[48:49], v[48:49], v[56:57]
	;; [unrolled: 1-line block ×4, first 2 shown]
	v_fma_f64 v[52:53], v[4:5], s[16:17], v[10:11]
	v_fma_f64 v[54:55], v[8:9], s[14:15], v[6:7]
	v_fma_f64 v[4:5], v[4:5], s[16:17], -v[10:11]
	v_add_f64 v[52:53], v[52:53], v[60:61]
	v_add_f64 v[54:55], v[54:55], v[62:63]
	;; [unrolled: 1-line block ×3, first 2 shown]
	v_fma_f64 v[0:1], v[8:9], s[34:35], v[6:7]
	v_add_f64 v[60:61], v[28:29], v[26:27]
	v_add_f64 v[62:63], v[24:25], v[20:21]
	v_mul_f64 v[4:5], v[66:67], s[30:31]
	v_mul_f64 v[20:21], v[66:67], s[26:27]
	;; [unrolled: 1-line block ×3, first 2 shown]
	v_add_f64 v[58:59], v[0:1], v[2:3]
	v_mul_f64 v[6:7], v[62:63], s[28:29]
	v_fma_f64 v[0:1], v[60:61], s[28:29], v[4:5]
	v_fma_f64 v[4:5], v[60:61], s[28:29], -v[4:5]
	v_fma_f64 v[24:25], v[60:61], s[16:17], v[28:29]
	v_fma_f64 v[28:29], v[60:61], s[16:17], -v[28:29]
	v_fma_f64 v[2:3], v[64:65], s[38:39], v[6:7]
	v_fma_f64 v[6:7], v[64:65], s[30:31], v[6:7]
	v_add_f64 v[4:5], v[4:5], v[12:13]
	v_mul_f64 v[12:13], v[66:67], s[18:19]
	v_add_f64 v[0:1], v[0:1], v[18:19]
	v_add_f64 v[24:25], v[24:25], v[46:47]
	;; [unrolled: 1-line block ×5, first 2 shown]
	v_mul_f64 v[14:15], v[62:63], s[6:7]
	v_fma_f64 v[8:9], v[60:61], s[6:7], v[12:13]
	v_fma_f64 v[12:13], v[60:61], s[6:7], -v[12:13]
	v_mul_f64 v[30:31], v[62:63], s[16:17]
	v_fma_f64 v[10:11], v[64:65], s[4:5], v[14:15]
	v_add_f64 v[8:9], v[8:9], v[22:23]
	v_add_f64 v[12:13], v[12:13], v[16:17]
	v_fma_f64 v[16:17], v[60:61], s[24:25], v[20:21]
	v_mul_f64 v[22:23], v[62:63], s[24:25]
	v_fma_f64 v[14:15], v[64:65], s[18:19], v[14:15]
	v_fma_f64 v[20:21], v[60:61], s[24:25], -v[20:21]
	v_fma_f64 v[26:27], v[64:65], s[14:15], v[30:31]
	v_add_f64 v[10:11], v[10:11], v[36:37]
	v_mul_f64 v[36:37], v[66:67], s[20:21]
	v_fma_f64 v[30:31], v[64:65], s[34:35], v[30:31]
	v_add_f64 v[16:17], v[16:17], v[38:39]
	v_mul_f64 v[38:39], v[62:63], s[22:23]
	v_fma_f64 v[18:19], v[64:65], s[40:41], v[22:23]
	v_add_f64 v[14:15], v[14:15], v[32:33]
	v_add_f64 v[20:21], v[20:21], v[34:35]
	v_fma_f64 v[22:23], v[64:65], s[26:27], v[22:23]
	v_fma_f64 v[32:33], v[60:61], s[22:23], v[36:37]
	v_fma_f64 v[36:37], v[60:61], s[22:23], -v[36:37]
	v_add_f64 v[26:27], v[26:27], v[50:51]
	v_fma_f64 v[34:35], v[64:65], s[36:37], v[38:39]
	v_fma_f64 v[38:39], v[64:65], s[20:21], v[38:39]
	v_add_f64 v[18:19], v[18:19], v[44:45]
	v_add_f64 v[30:31], v[30:31], v[48:49]
	;; [unrolled: 1-line block ×7, first 2 shown]
	ds_write_b128 v168, v[164:167]
	ds_write_b128 v168, v[0:3] offset:1344
	ds_write_b128 v168, v[8:11] offset:2688
	;; [unrolled: 1-line block ×10, first 2 shown]
	s_and_saveexec_b64 s[40:41], s[2:3]
	s_cbranch_execz .LBB0_29
; %bb.28:
	buffer_load_dword v14, off, s[48:51], 0 offset:992 ; 4-byte Folded Reload
	buffer_load_dword v15, off, s[48:51], 0 offset:996 ; 4-byte Folded Reload
	;; [unrolled: 1-line block ×36, first 2 shown]
	s_waitcnt vmcnt(32)
	v_mul_f64 v[0:1], v[16:17], v[150:151]
	s_waitcnt vmcnt(28)
	v_mul_f64 v[2:3], v[30:31], v[162:163]
	;; [unrolled: 2-line block ×4, first 2 shown]
	v_mul_f64 v[12:13], v[16:17], v[148:149]
	v_mul_f64 v[16:17], v[30:31], v[160:161]
	;; [unrolled: 1-line block ×3, first 2 shown]
	s_waitcnt vmcnt(16)
	v_mul_f64 v[20:21], v[48:49], v[138:139]
	v_fma_f64 v[4:5], v[14:15], v[148:149], v[0:1]
	v_fma_f64 v[2:3], v[28:29], v[160:161], v[2:3]
	;; [unrolled: 1-line block ×4, first 2 shown]
	v_mul_f64 v[10:11], v[26:27], v[140:141]
	v_fma_f64 v[14:15], v[14:15], v[150:151], -v[12:13]
	v_fma_f64 v[6:7], v[28:29], v[162:163], -v[16:17]
	s_waitcnt vmcnt(12)
	v_mul_f64 v[12:13], v[78:79], v[146:147]
	v_mul_f64 v[28:29], v[206:207], v[126:127]
	s_waitcnt vmcnt(8)
	v_mul_f64 v[22:23], v[58:59], v[130:131]
	s_waitcnt vmcnt(4)
	;; [unrolled: 2-line block ×3, first 2 shown]
	v_mul_f64 v[40:41], v[70:71], v[158:159]
	v_fma_f64 v[30:31], v[24:25], v[142:143], -v[10:11]
	v_fma_f64 v[24:25], v[32:33], v[154:155], -v[18:19]
	v_fma_f64 v[32:33], v[46:47], v[136:137], v[20:21]
	v_fma_f64 v[18:19], v[76:77], v[144:145], v[12:13]
	;; [unrolled: 1-line block ×3, first 2 shown]
	v_mul_f64 v[20:21], v[58:59], v[128:129]
	v_mul_f64 v[28:29], v[206:207], v[124:125]
	v_fma_f64 v[54:55], v[56:57], v[128:129], v[22:23]
	v_fma_f64 v[58:59], v[50:51], v[132:133], v[38:39]
	;; [unrolled: 1-line block ×3, first 2 shown]
	v_mul_f64 v[38:39], v[52:53], v[132:133]
	v_mul_f64 v[40:41], v[70:71], v[156:157]
	;; [unrolled: 1-line block ×3, first 2 shown]
	v_fma_f64 v[62:63], v[56:57], v[130:131], -v[20:21]
	v_fma_f64 v[20:21], v[204:205], v[126:127], -v[28:29]
	v_add_f64 v[60:61], v[54:55], -v[12:13]
	v_mul_f64 v[44:45], v[78:79], v[144:145]
	v_add_f64 v[64:65], v[58:59], -v[22:23]
	v_fma_f64 v[66:67], v[50:51], v[134:135], -v[38:39]
	v_fma_f64 v[28:29], v[68:69], v[158:159], -v[40:41]
	;; [unrolled: 1-line block ×3, first 2 shown]
	v_add_f64 v[82:83], v[54:55], v[12:13]
	v_add_f64 v[72:73], v[62:63], -v[20:21]
	v_mul_f64 v[38:39], v[60:61], s[30:31]
	v_add_f64 v[74:75], v[62:63], v[20:21]
	v_fma_f64 v[76:77], v[76:77], v[146:147], -v[44:45]
	v_add_f64 v[68:69], v[32:33], -v[18:19]
	v_add_f64 v[80:81], v[66:67], -v[28:29]
	v_mul_f64 v[40:41], v[64:65], s[18:19]
	v_add_f64 v[78:79], v[66:67], v[28:29]
	v_mul_f64 v[44:45], v[72:73], s[30:31]
	v_add_f64 v[90:91], v[58:59], v[22:23]
	v_fma_f64 v[46:47], v[74:75], s[28:29], v[38:39]
	v_add_f64 v[88:89], v[70:71], -v[76:77]
	v_add_f64 v[26:27], v[8:9], -v[0:1]
	v_mul_f64 v[50:51], v[80:81], s[18:19]
	v_mul_f64 v[42:43], v[68:69], s[26:27]
	v_add_f64 v[84:85], v[70:71], v[76:77]
	v_fma_f64 v[52:53], v[82:83], s[28:29], -v[44:45]
	v_fma_f64 v[48:49], v[78:79], s[6:7], v[40:41]
	v_add_f64 v[46:47], v[122:123], v[46:47]
	v_add_f64 v[92:93], v[30:31], -v[24:25]
	v_fma_f64 v[38:39], v[74:75], s[28:29], -v[38:39]
	v_add_f64 v[94:95], v[32:33], v[18:19]
	v_mul_f64 v[96:97], v[88:89], s[26:27]
	v_fma_f64 v[98:99], v[90:91], s[6:7], -v[50:51]
	v_add_f64 v[52:53], v[120:121], v[52:53]
	v_add_f64 v[16:17], v[4:5], -v[2:3]
	v_mul_f64 v[36:37], v[26:27], s[34:35]
	v_add_f64 v[86:87], v[30:31], v[24:25]
	v_fma_f64 v[56:57], v[84:85], s[24:25], v[42:43]
	v_add_f64 v[46:47], v[48:49], v[46:47]
	v_fma_f64 v[40:41], v[78:79], s[6:7], -v[40:41]
	v_add_f64 v[38:39], v[122:123], v[38:39]
	v_add_f64 v[102:103], v[8:9], v[0:1]
	v_mul_f64 v[48:49], v[92:93], s[34:35]
	v_fma_f64 v[104:105], v[94:95], s[24:25], -v[96:97]
	v_add_f64 v[52:53], v[98:99], v[52:53]
	v_add_f64 v[10:11], v[14:15], v[6:7]
	v_mul_f64 v[34:35], v[16:17], s[20:21]
	v_add_f64 v[100:101], v[14:15], -v[6:7]
	v_fma_f64 v[98:99], v[86:87], s[16:17], v[36:37]
	v_add_f64 v[46:47], v[56:57], v[46:47]
	v_fma_f64 v[42:43], v[84:85], s[24:25], -v[42:43]
	v_add_f64 v[38:39], v[40:41], v[38:39]
	v_fma_f64 v[40:41], v[102:103], s[16:17], -v[48:49]
	v_add_f64 v[52:53], v[104:105], v[52:53]
	v_add_f64 v[106:107], v[4:5], v[2:3]
	v_mul_f64 v[56:57], v[100:101], s[20:21]
	v_fma_f64 v[36:37], v[86:87], s[16:17], -v[36:37]
	v_add_f64 v[46:47], v[98:99], v[46:47]
	v_fma_f64 v[44:45], v[82:83], s[28:29], v[44:45]
	v_add_f64 v[38:39], v[42:43], v[38:39]
	v_fma_f64 v[42:43], v[10:11], s[22:23], v[34:35]
	v_add_f64 v[40:41], v[40:41], v[52:53]
	v_mul_f64 v[52:53], v[60:61], s[26:27]
	v_fma_f64 v[98:99], v[106:107], s[22:23], -v[56:57]
	v_fma_f64 v[104:105], v[10:11], s[22:23], -v[34:35]
	v_fma_f64 v[48:49], v[102:103], s[16:17], v[48:49]
	v_add_f64 v[44:45], v[120:121], v[44:45]
	v_add_f64 v[38:39], v[36:37], v[38:39]
	;; [unrolled: 1-line block ×3, first 2 shown]
	v_mul_f64 v[42:43], v[64:65], s[36:37]
	v_fma_f64 v[46:47], v[90:91], s[6:7], v[50:51]
	v_fma_f64 v[50:51], v[74:75], s[24:25], v[52:53]
	v_add_f64 v[34:35], v[98:99], v[40:41]
	v_mul_f64 v[110:111], v[80:81], s[36:37]
	v_fma_f64 v[52:53], v[74:75], s[24:25], -v[52:53]
	v_add_f64 v[40:41], v[104:105], v[38:39]
	v_fma_f64 v[38:39], v[94:95], s[24:25], v[96:97]
	v_mul_f64 v[96:97], v[68:69], s[4:5]
	v_fma_f64 v[98:99], v[78:79], s[22:23], v[42:43]
	v_mul_f64 v[104:105], v[72:73], s[26:27]
	v_add_f64 v[50:51], v[122:123], v[50:51]
	v_add_f64 v[44:45], v[46:47], v[44:45]
	v_fma_f64 v[46:47], v[106:107], s[22:23], v[56:57]
	v_mul_f64 v[56:57], v[26:27], s[30:31]
	v_mul_f64 v[114:115], v[88:89], s[4:5]
	v_fma_f64 v[108:109], v[84:85], s[6:7], v[96:97]
	v_fma_f64 v[116:117], v[90:91], s[22:23], -v[110:111]
	v_fma_f64 v[112:113], v[82:83], s[24:25], -v[104:105]
	v_add_f64 v[50:51], v[98:99], v[50:51]
	v_add_f64 v[38:39], v[38:39], v[44:45]
	v_mul_f64 v[98:99], v[16:17], s[34:35]
	v_fma_f64 v[44:45], v[86:87], s[28:29], v[56:57]
	v_fma_f64 v[42:43], v[78:79], s[22:23], -v[42:43]
	v_add_f64 v[52:53], v[122:123], v[52:53]
	v_fma_f64 v[118:119], v[94:95], s[6:7], -v[114:115]
	v_add_f64 v[112:113], v[120:121], v[112:113]
	v_add_f64 v[50:51], v[108:109], v[50:51]
	;; [unrolled: 1-line block ×3, first 2 shown]
	v_fma_f64 v[48:49], v[10:11], s[16:17], v[98:99]
	v_mul_f64 v[108:109], v[92:93], s[30:31]
	v_fma_f64 v[56:57], v[86:87], s[28:29], -v[56:57]
	v_add_f64 v[42:43], v[42:43], v[52:53]
	v_mul_f64 v[124:125], v[88:89], s[34:35]
	v_add_f64 v[112:113], v[116:117], v[112:113]
	v_add_f64 v[44:45], v[44:45], v[50:51]
	;; [unrolled: 1-line block ×3, first 2 shown]
	v_fma_f64 v[46:47], v[82:83], s[24:25], v[104:105]
	v_fma_f64 v[50:51], v[84:85], s[6:7], -v[96:97]
	v_fma_f64 v[96:97], v[102:103], s[28:29], -v[108:109]
	v_mul_f64 v[128:129], v[26:27], s[4:5]
	v_mul_f64 v[52:53], v[100:101], s[34:35]
	v_add_f64 v[104:105], v[118:119], v[112:113]
	v_add_f64 v[44:45], v[48:49], v[44:45]
	v_fma_f64 v[48:49], v[90:91], s[22:23], v[110:111]
	v_add_f64 v[46:47], v[120:121], v[46:47]
	v_add_f64 v[42:43], v[50:51], v[42:43]
	v_mul_f64 v[110:111], v[60:61], s[20:21]
	v_mul_f64 v[112:113], v[72:73], s[20:21]
	v_fma_f64 v[108:109], v[102:103], s[28:29], v[108:109]
	v_add_f64 v[96:97], v[96:97], v[104:105]
	v_fma_f64 v[104:105], v[94:95], s[6:7], v[114:115]
	v_mul_f64 v[114:115], v[80:81], s[38:39]
	v_add_f64 v[46:47], v[48:49], v[46:47]
	v_fma_f64 v[48:49], v[10:11], s[16:17], -v[98:99]
	v_add_f64 v[56:57], v[56:57], v[42:43]
	v_mul_f64 v[42:43], v[64:65], s[38:39]
	v_fma_f64 v[98:99], v[74:75], s[22:23], v[110:111]
	v_fma_f64 v[116:117], v[82:83], s[22:23], -v[112:113]
	v_fma_f64 v[132:133], v[94:95], s[16:17], -v[124:125]
	;; [unrolled: 1-line block ×3, first 2 shown]
	v_add_f64 v[46:47], v[104:105], v[46:47]
	v_fma_f64 v[104:105], v[74:75], s[22:23], -v[110:111]
	v_mul_f64 v[110:111], v[68:69], s[34:35]
	v_fma_f64 v[118:119], v[78:79], s[28:29], v[42:43]
	v_add_f64 v[98:99], v[122:123], v[98:99]
	v_add_f64 v[116:117], v[120:121], v[116:117]
	v_fma_f64 v[42:43], v[78:79], s[28:29], -v[42:43]
	v_fma_f64 v[50:51], v[106:107], s[16:17], -v[52:53]
	v_fma_f64 v[52:53], v[106:107], s[16:17], v[52:53]
	v_add_f64 v[104:105], v[122:123], v[104:105]
	v_fma_f64 v[130:131], v[84:85], s[16:17], v[110:111]
	v_fma_f64 v[110:111], v[84:85], s[16:17], -v[110:111]
	v_add_f64 v[98:99], v[118:119], v[98:99]
	v_mul_f64 v[118:119], v[92:93], s[4:5]
	v_add_f64 v[116:117], v[126:127], v[116:117]
	v_fma_f64 v[126:127], v[86:87], s[6:7], v[128:129]
	v_fma_f64 v[128:129], v[86:87], s[6:7], -v[128:129]
	v_add_f64 v[42:43], v[42:43], v[104:105]
	v_mul_f64 v[104:105], v[16:17], s[26:27]
	v_add_f64 v[46:47], v[108:109], v[46:47]
	v_add_f64 v[98:99], v[130:131], v[98:99]
	v_mul_f64 v[130:131], v[100:101], s[26:27]
	v_fma_f64 v[134:135], v[102:103], s[6:7], -v[118:119]
	v_add_f64 v[116:117], v[132:133], v[116:117]
	v_fma_f64 v[112:113], v[82:83], s[22:23], v[112:113]
	v_add_f64 v[42:43], v[110:111], v[42:43]
	v_fma_f64 v[108:109], v[10:11], s[24:25], v[104:105]
	v_fma_f64 v[104:105], v[10:11], s[24:25], -v[104:105]
	v_add_f64 v[98:99], v[126:127], v[98:99]
	v_fma_f64 v[110:111], v[106:107], s[24:25], -v[130:131]
	v_add_f64 v[46:47], v[52:53], v[46:47]
	v_add_f64 v[116:117], v[134:135], v[116:117]
	;; [unrolled: 1-line block ×5, first 2 shown]
	v_mul_f64 v[96:97], v[60:61], s[14:15]
	v_add_f64 v[52:53], v[108:109], v[98:99]
	v_mul_f64 v[98:99], v[72:73], s[14:15]
	v_add_f64 v[54:55], v[120:121], v[54:55]
	v_add_f64 v[48:49], v[48:49], v[56:57]
	;; [unrolled: 1-line block ×4, first 2 shown]
	v_fma_f64 v[104:105], v[90:91], s[28:29], v[114:115]
	v_mul_f64 v[108:109], v[64:65], s[26:27]
	v_fma_f64 v[110:111], v[74:75], s[16:17], v[96:97]
	v_add_f64 v[112:113], v[120:121], v[112:113]
	v_fma_f64 v[116:117], v[94:95], s[16:17], v[124:125]
	v_mul_f64 v[124:125], v[80:81], s[26:27]
	v_fma_f64 v[126:127], v[82:83], s[16:17], -v[98:99]
	v_add_f64 v[62:63], v[62:63], v[66:67]
	v_add_f64 v[54:55], v[54:55], v[58:59]
	v_fma_f64 v[114:115], v[106:107], s[24:25], v[130:131]
	v_fma_f64 v[130:131], v[78:79], s[24:25], v[108:109]
	v_add_f64 v[110:111], v[122:123], v[110:111]
	v_add_f64 v[104:105], v[104:105], v[112:113]
	v_fma_f64 v[112:113], v[102:103], s[6:7], v[118:119]
	v_mul_f64 v[118:119], v[88:89], s[38:39]
	v_fma_f64 v[132:133], v[90:91], s[24:25], -v[124:125]
	v_add_f64 v[126:127], v[120:121], v[126:127]
	v_fma_f64 v[96:97], v[74:75], s[16:17], -v[96:97]
	v_add_f64 v[62:63], v[62:63], v[70:71]
	v_add_f64 v[32:33], v[54:55], v[32:33]
	v_mul_f64 v[128:129], v[68:69], s[38:39]
	v_mul_f64 v[134:135], v[26:27], s[36:37]
	v_add_f64 v[110:111], v[130:131], v[110:111]
	v_fma_f64 v[130:131], v[94:95], s[28:29], -v[118:119]
	v_add_f64 v[126:127], v[132:133], v[126:127]
	v_fma_f64 v[108:109], v[78:79], s[24:25], -v[108:109]
	v_add_f64 v[96:97], v[122:123], v[96:97]
	v_add_f64 v[30:31], v[62:63], v[30:31]
	;; [unrolled: 1-line block ×3, first 2 shown]
	v_fma_f64 v[136:137], v[84:85], s[28:29], v[128:129]
	v_fma_f64 v[138:139], v[86:87], s[22:23], v[134:135]
	v_fma_f64 v[128:129], v[84:85], s[28:29], -v[128:129]
	v_add_f64 v[126:127], v[130:131], v[126:127]
	v_fma_f64 v[130:131], v[86:87], s[22:23], -v[134:135]
	v_add_f64 v[96:97], v[108:109], v[96:97]
	v_mul_f64 v[134:135], v[60:61], s[4:5]
	v_mul_f64 v[32:33], v[72:73], s[4:5]
	v_add_f64 v[14:15], v[30:31], v[14:15]
	v_add_f64 v[4:5], v[8:9], v[4:5]
	v_fma_f64 v[98:99], v[82:83], s[16:17], v[98:99]
	v_mul_f64 v[64:65], v[64:65], s[14:15]
	v_mul_f64 v[132:133], v[16:17], s[18:19]
	v_add_f64 v[96:97], v[128:129], v[96:97]
	v_fma_f64 v[128:129], v[74:75], s[6:7], v[134:135]
	v_fma_f64 v[72:73], v[74:75], s[6:7], -v[134:135]
	v_mul_f64 v[74:75], v[80:81], s[14:15]
	v_fma_f64 v[8:9], v[82:83], s[6:7], v[32:33]
	v_fma_f64 v[32:33], v[82:83], s[6:7], -v[32:33]
	v_add_f64 v[6:7], v[14:15], v[6:7]
	v_add_f64 v[2:3], v[4:5], v[2:3]
	v_fma_f64 v[60:61], v[90:91], s[24:25], v[124:125]
	v_add_f64 v[98:99], v[120:121], v[98:99]
	v_mul_f64 v[68:69], v[68:69], s[20:21]
	v_fma_f64 v[58:59], v[78:79], s[16:17], v[64:65]
	v_add_f64 v[66:67], v[122:123], v[128:129]
	v_mul_f64 v[30:31], v[88:89], s[20:21]
	v_fma_f64 v[64:65], v[78:79], s[16:17], -v[64:65]
	v_add_f64 v[72:73], v[122:123], v[72:73]
	v_fma_f64 v[78:79], v[90:91], s[16:17], v[74:75]
	v_add_f64 v[4:5], v[120:121], v[8:9]
	v_fma_f64 v[8:9], v[90:91], s[16:17], -v[74:75]
	v_add_f64 v[14:15], v[120:121], v[32:33]
	v_add_f64 v[6:7], v[6:7], v[24:25]
	;; [unrolled: 1-line block ×4, first 2 shown]
	v_mul_f64 v[116:117], v[92:93], s[36:37]
	v_fma_f64 v[124:125], v[10:11], s[6:7], -v[132:133]
	v_fma_f64 v[118:119], v[94:95], s[28:29], v[118:119]
	v_add_f64 v[60:61], v[60:61], v[98:99]
	v_add_f64 v[96:97], v[130:131], v[96:97]
	v_mul_f64 v[26:27], v[26:27], s[26:27]
	v_fma_f64 v[54:55], v[84:85], s[22:23], v[68:69]
	v_add_f64 v[58:59], v[58:59], v[66:67]
	v_mul_f64 v[62:63], v[92:93], s[26:27]
	v_fma_f64 v[32:33], v[84:85], s[22:23], -v[68:69]
	v_add_f64 v[64:65], v[64:65], v[72:73]
	v_fma_f64 v[68:69], v[94:95], s[22:23], v[30:31]
	v_add_f64 v[2:3], v[78:79], v[4:5]
	v_fma_f64 v[4:5], v[94:95], s[22:23], -v[30:31]
	v_add_f64 v[8:9], v[8:9], v[14:15]
	v_add_f64 v[6:7], v[6:7], v[76:77]
	;; [unrolled: 1-line block ×3, first 2 shown]
	v_fma_f64 v[140:141], v[102:103], s[22:23], -v[116:117]
	v_fma_f64 v[98:99], v[102:103], s[22:23], v[116:117]
	v_add_f64 v[116:117], v[118:119], v[60:61]
	v_add_f64 v[60:61], v[124:125], v[96:97]
	v_mul_f64 v[16:17], v[16:17], s[30:31]
	v_fma_f64 v[96:97], v[86:87], s[24:25], v[26:27]
	v_add_f64 v[54:55], v[54:55], v[58:59]
	v_mul_f64 v[58:59], v[100:101], s[30:31]
	v_fma_f64 v[14:15], v[86:87], s[24:25], -v[26:27]
	v_add_f64 v[24:25], v[32:33], v[64:65]
	v_fma_f64 v[26:27], v[102:103], s[24:25], v[62:63]
	v_add_f64 v[2:3], v[68:69], v[2:3]
	v_add_f64 v[110:111], v[136:137], v[110:111]
	v_mul_f64 v[136:137], v[100:101], s[18:19]
	v_fma_f64 v[18:19], v[102:103], s[24:25], -v[62:63]
	v_add_f64 v[4:5], v[4:5], v[8:9]
	v_add_f64 v[6:7], v[6:7], v[28:29]
	;; [unrolled: 1-line block ×3, first 2 shown]
	v_fma_f64 v[8:9], v[10:11], s[28:29], -v[16:17]
	v_add_f64 v[14:15], v[14:15], v[24:25]
	v_fma_f64 v[24:25], v[106:107], s[28:29], v[58:59]
	v_add_f64 v[22:23], v[26:27], v[2:3]
	v_fma_f64 v[66:67], v[106:107], s[6:7], v[136:137]
	v_add_f64 v[70:71], v[98:99], v[116:117]
	v_add_f64 v[104:105], v[112:113], v[104:105]
	v_fma_f64 v[112:113], v[10:11], s[6:7], v[132:133]
	v_add_f64 v[108:109], v[138:139], v[110:111]
	v_fma_f64 v[110:111], v[106:107], s[6:7], -v[136:137]
	v_add_f64 v[126:127], v[140:141], v[126:127]
	v_fma_f64 v[16:17], v[10:11], s[28:29], v[16:17]
	v_add_f64 v[26:27], v[96:97], v[54:55]
	v_fma_f64 v[28:29], v[106:107], s[28:29], -v[58:59]
	v_add_f64 v[18:19], v[18:19], v[4:5]
	v_add_f64 v[6:7], v[6:7], v[20:21]
	;; [unrolled: 1-line block ×11, first 2 shown]
	ds_write_b128 v168, v[4:7] offset:704
	ds_write_b128 v168, v[0:3] offset:2048
	;; [unrolled: 1-line block ×11, first 2 shown]
.LBB0_29:
	s_or_b64 exec, exec, s[40:41]
	buffer_load_dword v0, off, s[48:51], 0 offset:4 ; 4-byte Folded Reload
	buffer_load_dword v1, off, s[48:51], 0 offset:8 ; 4-byte Folded Reload
	s_waitcnt lgkmcnt(0)
	; wave barrier
	s_waitcnt lgkmcnt(0)
	v_mov_b32_e32 v24, s13
	s_mul_hi_u32 s7, s8, 0xfffffe5e
	s_mul_i32 s6, s9, 0xfffffe5e
	s_sub_i32 s7, s7, s8
	s_add_i32 s7, s7, s6
	s_mul_i32 s6, s8, 0xfffffe5e
	s_lshl_b64 s[6:7], s[6:7], 4
	ds_read_b128 v[4:7], v168 offset:704
	s_waitcnt vmcnt(1)
	v_mov_b32_e32 v11, v0
	s_waitcnt vmcnt(0)
	ds_read_b128 v[0:3], v168
	buffer_load_dword v20, off, s[48:51], 0 offset:240 ; 4-byte Folded Reload
	buffer_load_dword v21, off, s[48:51], 0 offset:244 ; 4-byte Folded Reload
	;; [unrolled: 1-line block ×4, first 2 shown]
	v_mad_u64_u32 v[16:17], s[2:3], s10, v11, 0
	v_mov_b32_e32 v8, v17
	s_waitcnt vmcnt(0) lgkmcnt(0)
	v_mul_f64 v[9:10], v[22:23], v[2:3]
	v_mad_u64_u32 v[11:12], s[2:3], s11, v11, v[8:9]
	v_mul_f64 v[12:13], v[22:23], v[0:1]
	v_fma_f64 v[8:9], v[20:21], v[0:1], v[9:10]
	buffer_load_dword v1, off, s[48:51], 0  ; 4-byte Folded Reload
	v_mov_b32_e32 v17, v11
	v_lshlrev_b64 v[16:17], 4, v[16:17]
	v_add_co_u32_e32 v25, vcc, s12, v16
	v_fma_f64 v[10:11], v[20:21], v[2:3], -v[12:13]
	v_addc_co_u32_e32 v24, vcc, v24, v17, vcc
	s_waitcnt vmcnt(0)
	v_mad_u64_u32 v[18:19], s[2:3], s8, v1, 0
	s_mov_b32 s2, 0x4046ed29
	s_mov_b32 s3, 0x3f51bb4a
	v_mov_b32_e32 v0, v19
	v_mad_u64_u32 v[12:13], s[4:5], s9, v1, v[0:1]
	ds_read_b128 v[0:3], v168 offset:7392
	v_mul_f64 v[8:9], v[8:9], s[2:3]
	v_mov_b32_e32 v19, v12
	ds_read_b128 v[12:15], v168 offset:8096
	buffer_load_dword v26, off, s[48:51], 0 offset:320 ; 4-byte Folded Reload
	buffer_load_dword v27, off, s[48:51], 0 offset:324 ; 4-byte Folded Reload
	;; [unrolled: 1-line block ×4, first 2 shown]
	v_mul_f64 v[10:11], v[10:11], s[2:3]
	v_lshlrev_b64 v[16:17], 4, v[18:19]
	s_mul_i32 s4, s9, 0x1ce
	v_add_co_u32_e32 v16, vcc, v25, v16
	v_addc_co_u32_e32 v17, vcc, v24, v17, vcc
	s_mul_hi_u32 s5, s8, 0x1ce
	global_store_dwordx4 v[16:17], v[8:11], off
	s_add_i32 s5, s5, s4
	s_mul_i32 s4, s8, 0x1ce
	s_lshl_b64 s[4:5], s[4:5], 4
	v_add_co_u32_e32 v16, vcc, s4, v16
	s_waitcnt vmcnt(1) lgkmcnt(1)
	v_mul_f64 v[20:21], v[28:29], v[2:3]
	v_mul_f64 v[22:23], v[28:29], v[0:1]
	v_fma_f64 v[0:1], v[26:27], v[0:1], v[20:21]
	v_fma_f64 v[2:3], v[26:27], v[2:3], -v[22:23]
	buffer_load_dword v20, off, s[48:51], 0 offset:64 ; 4-byte Folded Reload
	buffer_load_dword v21, off, s[48:51], 0 offset:68 ; 4-byte Folded Reload
	;; [unrolled: 1-line block ×4, first 2 shown]
	v_mul_f64 v[8:9], v[0:1], s[2:3]
	v_mul_f64 v[10:11], v[2:3], s[2:3]
	s_waitcnt vmcnt(0)
	v_mul_f64 v[0:1], v[22:23], v[6:7]
	v_mul_f64 v[18:19], v[22:23], v[4:5]
	v_fma_f64 v[2:3], v[20:21], v[4:5], v[0:1]
	v_mov_b32_e32 v1, s5
	v_addc_co_u32_e32 v17, vcc, v17, v1, vcc
	global_store_dwordx4 v[16:17], v[8:11], off
	buffer_load_dword v22, off, s[48:51], 0 offset:16 ; 4-byte Folded Reload
	buffer_load_dword v23, off, s[48:51], 0 offset:20 ; 4-byte Folded Reload
	;; [unrolled: 1-line block ×4, first 2 shown]
	v_fma_f64 v[4:5], v[20:21], v[6:7], -v[18:19]
	ds_read_b128 v[6:9], v168 offset:1408
	v_mul_f64 v[2:3], v[2:3], s[2:3]
	v_mov_b32_e32 v0, s7
	v_add_co_u32_e32 v26, vcc, s6, v16
	v_addc_co_u32_e32 v27, vcc, v17, v0, vcc
	v_mul_f64 v[4:5], v[4:5], s[2:3]
	s_waitcnt vmcnt(0) lgkmcnt(1)
	v_mul_f64 v[10:11], v[24:25], v[14:15]
	v_mul_f64 v[18:19], v[24:25], v[12:13]
	v_fma_f64 v[20:21], v[22:23], v[12:13], v[10:11]
	ds_read_b128 v[10:13], v168 offset:2112
	buffer_load_dword v28, off, s[48:51], 0 offset:32 ; 4-byte Folded Reload
	buffer_load_dword v29, off, s[48:51], 0 offset:36 ; 4-byte Folded Reload
	buffer_load_dword v30, off, s[48:51], 0 offset:40 ; 4-byte Folded Reload
	buffer_load_dword v31, off, s[48:51], 0 offset:44 ; 4-byte Folded Reload
	v_fma_f64 v[18:19], v[22:23], v[14:15], -v[18:19]
	global_store_dwordx4 v[26:27], v[2:5], off
	ds_read_b128 v[14:17], v168 offset:8800
	v_add_co_u32_e32 v26, vcc, s4, v26
	v_mul_f64 v[2:3], v[20:21], s[2:3]
	v_addc_co_u32_e32 v27, vcc, v27, v1, vcc
	v_mul_f64 v[4:5], v[18:19], s[2:3]
	s_waitcnt vmcnt(1) lgkmcnt(2)
	v_mul_f64 v[22:23], v[30:31], v[8:9]
	v_mul_f64 v[24:25], v[30:31], v[6:7]
	v_fma_f64 v[18:19], v[28:29], v[6:7], v[22:23]
	v_fma_f64 v[20:21], v[28:29], v[8:9], -v[24:25]
	ds_read_b128 v[6:9], v168 offset:9504
	buffer_load_dword v28, off, s[48:51], 0 offset:192 ; 4-byte Folded Reload
	buffer_load_dword v29, off, s[48:51], 0 offset:196 ; 4-byte Folded Reload
	;; [unrolled: 1-line block ×4, first 2 shown]
	s_waitcnt vmcnt(0) lgkmcnt(1)
	v_mul_f64 v[22:23], v[30:31], v[16:17]
	v_mul_f64 v[24:25], v[30:31], v[14:15]
	global_store_dwordx4 v[26:27], v[2:5], off
	v_fma_f64 v[14:15], v[28:29], v[14:15], v[22:23]
	v_mul_f64 v[2:3], v[18:19], s[2:3]
	v_mul_f64 v[4:5], v[20:21], s[2:3]
	v_fma_f64 v[16:17], v[28:29], v[16:17], -v[24:25]
	buffer_load_dword v28, off, s[48:51], 0 offset:256 ; 4-byte Folded Reload
	buffer_load_dword v29, off, s[48:51], 0 offset:260 ; 4-byte Folded Reload
	;; [unrolled: 1-line block ×4, first 2 shown]
	v_add_co_u32_e32 v22, vcc, s6, v26
	v_addc_co_u32_e32 v23, vcc, v27, v0, vcc
	global_store_dwordx4 v[22:23], v[2:5], off
	buffer_load_dword v24, off, s[48:51], 0 offset:112 ; 4-byte Folded Reload
	buffer_load_dword v25, off, s[48:51], 0 offset:116 ; 4-byte Folded Reload
	;; [unrolled: 1-line block ×4, first 2 shown]
	v_mul_f64 v[2:3], v[14:15], s[2:3]
	v_mul_f64 v[4:5], v[16:17], s[2:3]
	s_waitcnt vmcnt(5)
	v_mul_f64 v[18:19], v[30:31], v[12:13]
	v_mul_f64 v[20:21], v[30:31], v[10:11]
	s_waitcnt vmcnt(0) lgkmcnt(0)
	v_mul_f64 v[16:17], v[26:27], v[8:9]
	v_fma_f64 v[10:11], v[28:29], v[10:11], v[18:19]
	v_fma_f64 v[14:15], v[28:29], v[12:13], -v[20:21]
	v_mul_f64 v[18:19], v[26:27], v[6:7]
	v_add_co_u32_e32 v20, vcc, s4, v22
	v_addc_co_u32_e32 v21, vcc, v23, v1, vcc
	global_store_dwordx4 v[20:21], v[2:5], off
	v_add_co_u32_e32 v20, vcc, s6, v20
	v_mul_f64 v[2:3], v[10:11], s[2:3]
	ds_read_b128 v[10:13], v168 offset:2816
	v_mul_f64 v[4:5], v[14:15], s[2:3]
	v_fma_f64 v[14:15], v[24:25], v[6:7], v[16:17]
	v_fma_f64 v[18:19], v[24:25], v[8:9], -v[18:19]
	ds_read_b128 v[6:9], v168 offset:3520
	buffer_load_dword v26, off, s[48:51], 0 offset:224 ; 4-byte Folded Reload
	buffer_load_dword v27, off, s[48:51], 0 offset:228 ; 4-byte Folded Reload
	;; [unrolled: 1-line block ×4, first 2 shown]
	v_addc_co_u32_e32 v21, vcc, v21, v0, vcc
	global_store_dwordx4 v[20:21], v[2:5], off
	s_nop 0
	v_mul_f64 v[2:3], v[14:15], s[2:3]
	ds_read_b128 v[14:17], v168 offset:10208
	v_mul_f64 v[4:5], v[18:19], s[2:3]
	v_add_co_u32_e32 v20, vcc, s4, v20
	v_addc_co_u32_e32 v21, vcc, v21, v1, vcc
	s_waitcnt vmcnt(1) lgkmcnt(2)
	v_mul_f64 v[22:23], v[28:29], v[12:13]
	v_mul_f64 v[24:25], v[28:29], v[10:11]
	v_fma_f64 v[18:19], v[26:27], v[10:11], v[22:23]
	v_fma_f64 v[22:23], v[26:27], v[12:13], -v[24:25]
	ds_read_b128 v[10:13], v168 offset:10912
	buffer_load_dword v28, off, s[48:51], 0 offset:208 ; 4-byte Folded Reload
	buffer_load_dword v29, off, s[48:51], 0 offset:212 ; 4-byte Folded Reload
	;; [unrolled: 1-line block ×4, first 2 shown]
	s_waitcnt vmcnt(0) lgkmcnt(1)
	v_mul_f64 v[24:25], v[30:31], v[16:17]
	v_mul_f64 v[26:27], v[30:31], v[14:15]
	global_store_dwordx4 v[20:21], v[2:5], off
	v_add_co_u32_e32 v20, vcc, s6, v20
	v_mul_f64 v[2:3], v[18:19], s[2:3]
	v_mul_f64 v[4:5], v[22:23], s[2:3]
	v_addc_co_u32_e32 v21, vcc, v21, v0, vcc
	v_fma_f64 v[14:15], v[28:29], v[14:15], v[24:25]
	v_fma_f64 v[16:17], v[28:29], v[16:17], -v[26:27]
	buffer_load_dword v24, off, s[48:51], 0 offset:128 ; 4-byte Folded Reload
	buffer_load_dword v25, off, s[48:51], 0 offset:132 ; 4-byte Folded Reload
	;; [unrolled: 1-line block ×4, first 2 shown]
	s_waitcnt vmcnt(0)
	v_mul_f64 v[18:19], v[26:27], v[8:9]
	v_mul_f64 v[22:23], v[26:27], v[6:7]
	global_store_dwordx4 v[20:21], v[2:5], off
	v_add_co_u32_e32 v20, vcc, s4, v20
	v_mul_f64 v[2:3], v[14:15], s[2:3]
	v_mul_f64 v[4:5], v[16:17], s[2:3]
	v_addc_co_u32_e32 v21, vcc, v21, v1, vcc
	v_fma_f64 v[6:7], v[24:25], v[6:7], v[18:19]
	v_fma_f64 v[14:15], v[24:25], v[8:9], -v[22:23]
	buffer_load_dword v22, off, s[48:51], 0 offset:144 ; 4-byte Folded Reload
	buffer_load_dword v23, off, s[48:51], 0 offset:148 ; 4-byte Folded Reload
	;; [unrolled: 1-line block ×4, first 2 shown]
	s_waitcnt vmcnt(0) lgkmcnt(0)
	v_mul_f64 v[16:17], v[24:25], v[12:13]
	v_mul_f64 v[18:19], v[24:25], v[10:11]
	global_store_dwordx4 v[20:21], v[2:5], off
	v_add_co_u32_e32 v20, vcc, s6, v20
	v_mul_f64 v[2:3], v[6:7], s[2:3]
	ds_read_b128 v[6:9], v168 offset:4224
	v_mul_f64 v[4:5], v[14:15], s[2:3]
	v_fma_f64 v[14:15], v[22:23], v[10:11], v[16:17]
	v_fma_f64 v[18:19], v[22:23], v[12:13], -v[18:19]
	ds_read_b128 v[10:13], v168 offset:4928
	buffer_load_dword v26, off, s[48:51], 0 offset:176 ; 4-byte Folded Reload
	buffer_load_dword v27, off, s[48:51], 0 offset:180 ; 4-byte Folded Reload
	;; [unrolled: 1-line block ×4, first 2 shown]
	v_addc_co_u32_e32 v21, vcc, v21, v0, vcc
	global_store_dwordx4 v[20:21], v[2:5], off
	s_nop 0
	v_mul_f64 v[2:3], v[14:15], s[2:3]
	ds_read_b128 v[14:17], v168 offset:11616
	v_mul_f64 v[4:5], v[18:19], s[2:3]
	v_add_co_u32_e32 v20, vcc, s4, v20
	v_addc_co_u32_e32 v21, vcc, v21, v1, vcc
	s_waitcnt vmcnt(1) lgkmcnt(2)
	v_mul_f64 v[22:23], v[28:29], v[8:9]
	v_mul_f64 v[24:25], v[28:29], v[6:7]
	v_fma_f64 v[18:19], v[26:27], v[6:7], v[22:23]
	v_fma_f64 v[22:23], v[26:27], v[8:9], -v[24:25]
	ds_read_b128 v[6:9], v168 offset:12320
	buffer_load_dword v28, off, s[48:51], 0 offset:288 ; 4-byte Folded Reload
	buffer_load_dword v29, off, s[48:51], 0 offset:292 ; 4-byte Folded Reload
	;; [unrolled: 1-line block ×4, first 2 shown]
	s_waitcnt vmcnt(0) lgkmcnt(1)
	v_mul_f64 v[24:25], v[30:31], v[16:17]
	v_mul_f64 v[26:27], v[30:31], v[14:15]
	global_store_dwordx4 v[20:21], v[2:5], off
	v_add_co_u32_e32 v20, vcc, s6, v20
	v_mul_f64 v[2:3], v[18:19], s[2:3]
	v_mul_f64 v[4:5], v[22:23], s[2:3]
	v_addc_co_u32_e32 v21, vcc, v21, v0, vcc
	v_fma_f64 v[14:15], v[28:29], v[14:15], v[24:25]
	v_fma_f64 v[16:17], v[28:29], v[16:17], -v[26:27]
	buffer_load_dword v24, off, s[48:51], 0 offset:48 ; 4-byte Folded Reload
	buffer_load_dword v25, off, s[48:51], 0 offset:52 ; 4-byte Folded Reload
	;; [unrolled: 1-line block ×4, first 2 shown]
	s_waitcnt vmcnt(0)
	v_mul_f64 v[18:19], v[26:27], v[12:13]
	v_mul_f64 v[22:23], v[26:27], v[10:11]
	global_store_dwordx4 v[20:21], v[2:5], off
	v_add_co_u32_e32 v20, vcc, s4, v20
	v_mul_f64 v[2:3], v[14:15], s[2:3]
	v_mul_f64 v[4:5], v[16:17], s[2:3]
	v_addc_co_u32_e32 v21, vcc, v21, v1, vcc
	v_fma_f64 v[10:11], v[24:25], v[10:11], v[18:19]
	v_fma_f64 v[14:15], v[24:25], v[12:13], -v[22:23]
	buffer_load_dword v22, off, s[48:51], 0 offset:80 ; 4-byte Folded Reload
	buffer_load_dword v23, off, s[48:51], 0 offset:84 ; 4-byte Folded Reload
	buffer_load_dword v24, off, s[48:51], 0 offset:88 ; 4-byte Folded Reload
	buffer_load_dword v25, off, s[48:51], 0 offset:92 ; 4-byte Folded Reload
	s_waitcnt vmcnt(0) lgkmcnt(0)
	v_mul_f64 v[16:17], v[24:25], v[8:9]
	v_mul_f64 v[18:19], v[24:25], v[6:7]
	global_store_dwordx4 v[20:21], v[2:5], off
	v_add_co_u32_e32 v20, vcc, s6, v20
	v_mul_f64 v[2:3], v[10:11], s[2:3]
	ds_read_b128 v[10:13], v168 offset:5632
	v_mul_f64 v[4:5], v[14:15], s[2:3]
	v_fma_f64 v[14:15], v[22:23], v[6:7], v[16:17]
	v_fma_f64 v[18:19], v[22:23], v[8:9], -v[18:19]
	ds_read_b128 v[6:9], v168 offset:6336
	buffer_load_dword v26, off, s[48:51], 0 offset:160 ; 4-byte Folded Reload
	buffer_load_dword v27, off, s[48:51], 0 offset:164 ; 4-byte Folded Reload
	;; [unrolled: 1-line block ×4, first 2 shown]
	v_addc_co_u32_e32 v21, vcc, v21, v0, vcc
	global_store_dwordx4 v[20:21], v[2:5], off
	s_nop 0
	v_mul_f64 v[2:3], v[14:15], s[2:3]
	ds_read_b128 v[14:17], v168 offset:13024
	v_mul_f64 v[4:5], v[18:19], s[2:3]
	v_add_co_u32_e32 v20, vcc, s4, v20
	v_addc_co_u32_e32 v21, vcc, v21, v1, vcc
	s_waitcnt vmcnt(1) lgkmcnt(2)
	v_mul_f64 v[22:23], v[28:29], v[12:13]
	v_mul_f64 v[24:25], v[28:29], v[10:11]
	v_fma_f64 v[18:19], v[26:27], v[10:11], v[22:23]
	v_fma_f64 v[22:23], v[26:27], v[12:13], -v[24:25]
	ds_read_b128 v[10:13], v168 offset:13728
	buffer_load_dword v28, off, s[48:51], 0 offset:272 ; 4-byte Folded Reload
	buffer_load_dword v29, off, s[48:51], 0 offset:276 ; 4-byte Folded Reload
	buffer_load_dword v30, off, s[48:51], 0 offset:280 ; 4-byte Folded Reload
	buffer_load_dword v31, off, s[48:51], 0 offset:284 ; 4-byte Folded Reload
	s_waitcnt vmcnt(0) lgkmcnt(1)
	v_mul_f64 v[24:25], v[30:31], v[16:17]
	v_mul_f64 v[26:27], v[30:31], v[14:15]
	global_store_dwordx4 v[20:21], v[2:5], off
	buffer_load_dword v32, off, s[48:51], 0 offset:304 ; 4-byte Folded Reload
	buffer_load_dword v33, off, s[48:51], 0 offset:308 ; 4-byte Folded Reload
	buffer_load_dword v34, off, s[48:51], 0 offset:312 ; 4-byte Folded Reload
	buffer_load_dword v35, off, s[48:51], 0 offset:316 ; 4-byte Folded Reload
	v_mul_f64 v[2:3], v[18:19], s[2:3]
	v_mul_f64 v[4:5], v[22:23], s[2:3]
	v_add_co_u32_e32 v20, vcc, s6, v20
	v_fma_f64 v[14:15], v[28:29], v[14:15], v[24:25]
	v_fma_f64 v[16:17], v[28:29], v[16:17], -v[26:27]
	buffer_load_dword v28, off, s[48:51], 0 offset:96 ; 4-byte Folded Reload
	buffer_load_dword v29, off, s[48:51], 0 offset:100 ; 4-byte Folded Reload
	;; [unrolled: 1-line block ×4, first 2 shown]
	v_addc_co_u32_e32 v21, vcc, v21, v0, vcc
	global_store_dwordx4 v[20:21], v[2:5], off
	s_waitcnt vmcnt(5)
	v_mul_f64 v[18:19], v[34:35], v[8:9]
	v_mul_f64 v[22:23], v[34:35], v[6:7]
	;; [unrolled: 1-line block ×4, first 2 shown]
	v_add_co_u32_e32 v14, vcc, s4, v20
	v_addc_co_u32_e32 v15, vcc, v21, v1, vcc
	s_waitcnt vmcnt(1) lgkmcnt(0)
	v_mul_f64 v[24:25], v[30:31], v[12:13]
	v_mul_f64 v[26:27], v[30:31], v[10:11]
	v_fma_f64 v[6:7], v[32:33], v[6:7], v[18:19]
	v_fma_f64 v[8:9], v[32:33], v[8:9], -v[22:23]
	global_store_dwordx4 v[14:15], v[2:5], off
	v_fma_f64 v[10:11], v[28:29], v[10:11], v[24:25]
	v_fma_f64 v[12:13], v[28:29], v[12:13], -v[26:27]
	v_mul_f64 v[6:7], v[6:7], s[2:3]
	v_mul_f64 v[8:9], v[8:9], s[2:3]
	;; [unrolled: 1-line block ×4, first 2 shown]
	v_add_co_u32_e32 v10, vcc, s6, v14
	v_addc_co_u32_e32 v11, vcc, v15, v0, vcc
	v_add_co_u32_e32 v0, vcc, s4, v10
	v_addc_co_u32_e32 v1, vcc, v11, v1, vcc
	global_store_dwordx4 v[10:11], v[6:9], off
	global_store_dwordx4 v[0:1], v[2:5], off
	s_and_b64 exec, exec, s[0:1]
	s_cbranch_execz .LBB0_31
; %bb.30:
	buffer_load_dword v16, off, s[48:51], 0 offset:12 ; 4-byte Folded Reload
	buffer_load_dword v17, off, s[48:51], 0 offset:812 ; 4-byte Folded Reload
	s_movk_i32 s0, 0x3000
	s_waitcnt vmcnt(1)
	v_add_co_u32_e32 v2, vcc, 0x1000, v16
	s_waitcnt vmcnt(0)
	v_addc_co_u32_e32 v3, vcc, 0, v17, vcc
	global_load_dwordx4 v[2:5], v[2:3], off offset:2944
	ds_read_b128 v[6:9], v168 offset:7040
	ds_read_b128 v[10:13], v168 offset:14432
	s_waitcnt vmcnt(0) lgkmcnt(1)
	v_mul_f64 v[14:15], v[8:9], v[4:5]
	v_mul_f64 v[4:5], v[6:7], v[4:5]
	v_fma_f64 v[6:7], v[6:7], v[2:3], v[14:15]
	v_fma_f64 v[4:5], v[2:3], v[8:9], -v[4:5]
	v_mov_b32_e32 v8, s7
	v_mul_f64 v[2:3], v[6:7], s[2:3]
	v_mul_f64 v[4:5], v[4:5], s[2:3]
	v_add_co_u32_e32 v6, vcc, s6, v0
	v_addc_co_u32_e32 v7, vcc, v1, v8, vcc
	v_add_co_u32_e32 v0, vcc, s0, v16
	v_addc_co_u32_e32 v1, vcc, 0, v17, vcc
	global_store_dwordx4 v[6:7], v[2:5], off
	global_load_dwordx4 v[0:3], v[0:1], off offset:2144
	s_waitcnt vmcnt(0) lgkmcnt(0)
	v_mul_f64 v[4:5], v[12:13], v[2:3]
	v_mul_f64 v[2:3], v[10:11], v[2:3]
	v_fma_f64 v[4:5], v[10:11], v[0:1], v[4:5]
	v_fma_f64 v[2:3], v[0:1], v[12:13], -v[2:3]
	v_mul_f64 v[0:1], v[4:5], s[2:3]
	v_mul_f64 v[2:3], v[2:3], s[2:3]
	v_mov_b32_e32 v5, s5
	v_add_co_u32_e32 v4, vcc, s4, v6
	v_addc_co_u32_e32 v5, vcc, v7, v5, vcc
	global_store_dwordx4 v[4:5], v[0:3], off
.LBB0_31:
	s_endpgm
	.section	.rodata,"a",@progbits
	.p2align	6, 0x0
	.amdhsa_kernel bluestein_single_fwd_len924_dim1_dp_op_CI_CI
		.amdhsa_group_segment_fixed_size 14784
		.amdhsa_private_segment_fixed_size 1020
		.amdhsa_kernarg_size 104
		.amdhsa_user_sgpr_count 6
		.amdhsa_user_sgpr_private_segment_buffer 1
		.amdhsa_user_sgpr_dispatch_ptr 0
		.amdhsa_user_sgpr_queue_ptr 0
		.amdhsa_user_sgpr_kernarg_segment_ptr 1
		.amdhsa_user_sgpr_dispatch_id 0
		.amdhsa_user_sgpr_flat_scratch_init 0
		.amdhsa_user_sgpr_private_segment_size 0
		.amdhsa_uses_dynamic_stack 0
		.amdhsa_system_sgpr_private_segment_wavefront_offset 1
		.amdhsa_system_sgpr_workgroup_id_x 1
		.amdhsa_system_sgpr_workgroup_id_y 0
		.amdhsa_system_sgpr_workgroup_id_z 0
		.amdhsa_system_sgpr_workgroup_info 0
		.amdhsa_system_vgpr_workitem_id 0
		.amdhsa_next_free_vgpr 256
		.amdhsa_next_free_sgpr 52
		.amdhsa_reserve_vcc 1
		.amdhsa_reserve_flat_scratch 0
		.amdhsa_float_round_mode_32 0
		.amdhsa_float_round_mode_16_64 0
		.amdhsa_float_denorm_mode_32 3
		.amdhsa_float_denorm_mode_16_64 3
		.amdhsa_dx10_clamp 1
		.amdhsa_ieee_mode 1
		.amdhsa_fp16_overflow 0
		.amdhsa_exception_fp_ieee_invalid_op 0
		.amdhsa_exception_fp_denorm_src 0
		.amdhsa_exception_fp_ieee_div_zero 0
		.amdhsa_exception_fp_ieee_overflow 0
		.amdhsa_exception_fp_ieee_underflow 0
		.amdhsa_exception_fp_ieee_inexact 0
		.amdhsa_exception_int_div_zero 0
	.end_amdhsa_kernel
	.text
.Lfunc_end0:
	.size	bluestein_single_fwd_len924_dim1_dp_op_CI_CI, .Lfunc_end0-bluestein_single_fwd_len924_dim1_dp_op_CI_CI
                                        ; -- End function
	.section	.AMDGPU.csdata,"",@progbits
; Kernel info:
; codeLenInByte = 36156
; NumSgprs: 56
; NumVgprs: 256
; ScratchSize: 1020
; MemoryBound: 0
; FloatMode: 240
; IeeeMode: 1
; LDSByteSize: 14784 bytes/workgroup (compile time only)
; SGPRBlocks: 6
; VGPRBlocks: 63
; NumSGPRsForWavesPerEU: 56
; NumVGPRsForWavesPerEU: 256
; Occupancy: 1
; WaveLimiterHint : 1
; COMPUTE_PGM_RSRC2:SCRATCH_EN: 1
; COMPUTE_PGM_RSRC2:USER_SGPR: 6
; COMPUTE_PGM_RSRC2:TRAP_HANDLER: 0
; COMPUTE_PGM_RSRC2:TGID_X_EN: 1
; COMPUTE_PGM_RSRC2:TGID_Y_EN: 0
; COMPUTE_PGM_RSRC2:TGID_Z_EN: 0
; COMPUTE_PGM_RSRC2:TIDIG_COMP_CNT: 0
	.type	__hip_cuid_3648c4d72805ad9d,@object ; @__hip_cuid_3648c4d72805ad9d
	.section	.bss,"aw",@nobits
	.globl	__hip_cuid_3648c4d72805ad9d
__hip_cuid_3648c4d72805ad9d:
	.byte	0                               ; 0x0
	.size	__hip_cuid_3648c4d72805ad9d, 1

	.ident	"AMD clang version 19.0.0git (https://github.com/RadeonOpenCompute/llvm-project roc-6.4.0 25133 c7fe45cf4b819c5991fe208aaa96edf142730f1d)"
	.section	".note.GNU-stack","",@progbits
	.addrsig
	.addrsig_sym __hip_cuid_3648c4d72805ad9d
	.amdgpu_metadata
---
amdhsa.kernels:
  - .args:
      - .actual_access:  read_only
        .address_space:  global
        .offset:         0
        .size:           8
        .value_kind:     global_buffer
      - .actual_access:  read_only
        .address_space:  global
        .offset:         8
        .size:           8
        .value_kind:     global_buffer
      - .actual_access:  read_only
        .address_space:  global
        .offset:         16
        .size:           8
        .value_kind:     global_buffer
      - .actual_access:  read_only
        .address_space:  global
        .offset:         24
        .size:           8
        .value_kind:     global_buffer
      - .actual_access:  read_only
        .address_space:  global
        .offset:         32
        .size:           8
        .value_kind:     global_buffer
      - .offset:         40
        .size:           8
        .value_kind:     by_value
      - .address_space:  global
        .offset:         48
        .size:           8
        .value_kind:     global_buffer
      - .address_space:  global
        .offset:         56
        .size:           8
        .value_kind:     global_buffer
      - .address_space:  global
        .offset:         64
        .size:           8
        .value_kind:     global_buffer
      - .address_space:  global
        .offset:         72
        .size:           8
        .value_kind:     global_buffer
      - .offset:         80
        .size:           4
        .value_kind:     by_value
      - .address_space:  global
        .offset:         88
        .size:           8
        .value_kind:     global_buffer
      - .address_space:  global
        .offset:         96
        .size:           8
        .value_kind:     global_buffer
    .group_segment_fixed_size: 14784
    .kernarg_segment_align: 8
    .kernarg_segment_size: 104
    .language:       OpenCL C
    .language_version:
      - 2
      - 0
    .max_flat_workgroup_size: 44
    .name:           bluestein_single_fwd_len924_dim1_dp_op_CI_CI
    .private_segment_fixed_size: 1020
    .sgpr_count:     56
    .sgpr_spill_count: 0
    .symbol:         bluestein_single_fwd_len924_dim1_dp_op_CI_CI.kd
    .uniform_work_group_size: 1
    .uses_dynamic_stack: false
    .vgpr_count:     256
    .vgpr_spill_count: 254
    .wavefront_size: 64
amdhsa.target:   amdgcn-amd-amdhsa--gfx906
amdhsa.version:
  - 1
  - 2
...

	.end_amdgpu_metadata
